;; amdgpu-corpus repo=ROCm/aiter kind=harvested arch=n/a opt=n/a

/root/src/amdgpu-assembly/repos/ROCm__aiter/hsa/gfx942/fmoe/gelu/fmoe_fp16_pertokenFp8_g1u1_vs_gelu_1tg_ps_32x256.co:	file format elf64-amdgpu

Disassembly of section .text:

0000000000002e00 <_ZN5aiter48fmoe_fp16_pertokenFp8_g1u1_vs_gelu_1tg_ps_32x256E>:
	v_lshrrev_b32_e32 v1, 10, v0                               // 000000002E00: 2002008A
	v_lshrrev_b32_e32 v2, 10, v1                               // 000000002E04: 2004028A
	v_and_b32_e32 v2, 0x3ff, v2                                // 000000002E08: 260404FF 000003FF
	v_and_b32_e32 v1, 0x3ff, v1                                // 000000002E10: 260202FF 000003FF
	v_and_b32_e32 v0, 0x3ff, v0                                // 000000002E18: 260000FF 000003FF
	v_lshrrev_b32_e32 v3, 6, v0                                // 000000002E20: 20060086
	v_and_b32_e32 v0, 63, v0                                   // 000000002E24: 260000BF
	s_mov_b32 s2, s2                                           // 000000002E28: BE820002
	s_mov_b32 s3, s3                                           // 000000002E2C: BE830003
	s_mov_b32 s4, s4                                           // 000000002E30: BE840004
	s_mov_b32 s99, s2                                          // 000000002E34: BEE30002
	v_readfirstlane_b32 s7, v3                                 // 000000002E38: 7E0E0503
	s_and_b32 s1, s1, 0xffff                                   // 000000002E3C: 8601FF01 0000FFFF
	s_mov_b32 s96, 0                                           // 000000002E44: BEE00080
	s_mov_b32 s97, 0                                           // 000000002E48: BEE10080
	s_mov_b32 s100, 0                                          // 000000002E4C: BEE40080
	s_load_dword s96, s[0:1], 0x1a0                            // 000000002E50: C0021800 000001A0
	s_load_dword s97, s[0:1], 0x1b0                            // 000000002E58: C0021840 000001B0
	s_waitcnt lgkmcnt(0)                                       // 000000002E60: BF8CC07F
	s_cmp_eq_u32 s96, 0                                        // 000000002E64: BF068060
	s_cbranch_scc1 label_005C                                  // 000000002E68: BF850041
	v_cvt_f32_u32_e32 v46, s97                                 // 000000002E6C: 7E5C0C61
	s_sub_i32 s60, 0, s97                                      // 000000002E70: 81BC6180
	v_rcp_iflag_f32_e32 v46, v46                               // 000000002E74: 7E5C472E
	s_nop 0                                                    // 000000002E78: BF800000
	v_mul_f32_e32 v46, 0x4f7ffffe, v46                         // 000000002E7C: 0A5C5CFF 4F7FFFFE
	v_cvt_u32_f32_e32 v46, v46                                 // 000000002E84: 7E5C0F2E
	v_mul_lo_u32 v47, s60, v46                                 // 000000002E88: D285002F 00025C3C
	v_mul_hi_u32 v47, v46, v47                                 // 000000002E90: D286002F 00025F2E
	v_add_u32_e32 v46, v46, v47                                // 000000002E98: 685C5F2E
	v_mul_hi_u32 v46, s96, v46                                 // 000000002E9C: D286002E 00025C60
	v_mul_lo_u32 v47, v46, s97                                 // 000000002EA4: D285002F 0000C32E
	v_sub_u32_e32 v49, s96, v47                                // 000000002EAC: 6A625E60
	v_add_u32_e32 v48, 1, v46                                  // 000000002EB0: 68605C81
	v_cmp_le_u32_e32 vcc, s97, v49                             // 000000002EB4: 7D966261
	v_subrev_u32_e32 v47, s97, v49                             // 000000002EB8: 6C5E6261
	s_nop 0                                                    // 000000002EBC: BF800000
	v_cndmask_b32_e32 v46, v46, v48, vcc                       // 000000002EC0: 005C612E
	v_cndmask_b32_e32 v49, v49, v47, vcc                       // 000000002EC4: 00625F31
	v_add_u32_e32 v47, 1, v46                                  // 000000002EC8: 685E5C81
	v_cmp_le_u32_e32 vcc, s97, v49                             // 000000002ECC: 7D966261
	s_nop 1                                                    // 000000002ED0: BF800001
	v_cndmask_b32_e32 v49, v46, v47, vcc                       // 000000002ED4: 00625F2E
	s_nop 3                                                    // 000000002ED8: BF800003
	v_readfirstlane_b32 s98, v49                               // 000000002EDC: 7EC40531
	s_nop 3                                                    // 000000002EE0: BF800003

0000000000002ee4 <label_0039>:
	s_mov_b32 s4, 0                                            // 000000002EE4: BE840080
	v_cvt_f32_u32_e32 v46, s97                                 // 000000002EE8: 7E5C0C61
	s_sub_i32 s60, 0, s97                                      // 000000002EEC: 81BC6180
	v_rcp_iflag_f32_e32 v46, v46                               // 000000002EF0: 7E5C472E
	s_nop 0                                                    // 000000002EF4: BF800000
	v_mul_f32_e32 v46, 0x4f7ffffe, v46                         // 000000002EF8: 0A5C5CFF 4F7FFFFE
	v_cvt_u32_f32_e32 v46, v46                                 // 000000002F00: 7E5C0F2E
	v_mul_lo_u32 v47, s60, v46                                 // 000000002F04: D285002F 00025C3C
	v_mul_hi_u32 v47, v46, v47                                 // 000000002F0C: D286002F 00025F2E
	v_add_u32_e32 v46, v46, v47                                // 000000002F14: 685C5F2E
	v_mul_hi_u32 v46, s99, v46                                 // 000000002F18: D286002E 00025C63
	v_mul_lo_u32 v47, v46, s97                                 // 000000002F20: D285002F 0000C32E
	v_sub_u32_e32 v49, s99, v47                                // 000000002F28: 6A625E63
	v_add_u32_e32 v48, 1, v46                                  // 000000002F2C: 68605C81
	v_cmp_le_u32_e32 vcc, s97, v49                             // 000000002F30: 7D966261
	v_subrev_u32_e32 v47, s97, v49                             // 000000002F34: 6C5E6261
	s_nop 0                                                    // 000000002F38: BF800000
	v_cndmask_b32_e32 v46, v46, v48, vcc                       // 000000002F3C: 005C612E
	v_cndmask_b32_e32 v49, v49, v47, vcc                       // 000000002F40: 00625F31
	v_add_u32_e32 v47, 1, v46                                  // 000000002F44: 685E5C81
	v_cmp_le_u32_e32 vcc, s97, v49                             // 000000002F48: 7D966261
	s_nop 1                                                    // 000000002F4C: BF800001
	v_cndmask_b32_e32 v49, v46, v47, vcc                       // 000000002F50: 00625F2E
	s_nop 3                                                    // 000000002F54: BF800003
	v_readfirstlane_b32 s3, v49                                // 000000002F58: 7E060531
	s_nop 3                                                    // 000000002F5C: BF800003
	s_mul_i32 s60, s3, s97                                     // 000000002F60: 923C6103
	s_sub_u32 s2, s99, s60                                     // 000000002F64: 80823C63
	s_mul_i32 s60, s98, s100                                   // 000000002F68: 923C6462
	s_add_i32 s3, s3, s60                                      // 000000002F6C: 81033C03

0000000000002f70 <label_005C>:
	s_and_b32 s1, s1, 0xffff                                   // 000000002F70: 8601FF01 0000FFFF
	s_load_dwordx2 s[8:9], s[0:1], 0x0                         // 000000002F78: C0060200 00000000
	s_load_dwordx2 s[20:21], s[0:1], 0x10                      // 000000002F80: C0060500 00000010
	s_load_dwordx2 s[24:25], s[0:1], 0x20                      // 000000002F88: C0060600 00000020
	s_load_dwordx2 s[50:51], s[0:1], 0x30                      // 000000002F90: C0060C80 00000030
	s_load_dwordx2 s[12:13], s[0:1], 0x40                      // 000000002F98: C0060300 00000040
	s_load_dwordx2 s[28:29], s[0:1], 0x50                      // 000000002FA0: C0060700 00000050
	s_load_dwordx2 s[32:33], s[0:1], 0x60                      // 000000002FA8: C0060800 00000060
	s_load_dwordx2 s[16:17], s[0:1], 0x70                      // 000000002FB0: C0060400 00000070
	s_load_dwordx2 s[36:37], s[0:1], 0x80                      // 000000002FB8: C0060900 00000080
	s_load_dwordx2 s[44:45], s[0:1], 0x90                      // 000000002FC0: C0060B00 00000090
	s_load_dwordx2 s[40:41], s[0:1], 0xa0                      // 000000002FC8: C0060A00 000000A0
	s_load_dwordx2 s[46:47], s[0:1], 0xb0                      // 000000002FD0: C0060B80 000000B0
	s_load_dword s64, s[0:1], 0xc0                             // 000000002FD8: C0021000 000000C0
	s_load_dword s65, s[0:1], 0xd0                             // 000000002FE0: C0021040 000000D0
	s_load_dword s67, s[0:1], 0xf0                             // 000000002FE8: C00210C0 000000F0
	s_load_dword s68, s[0:1], 0x100                            // 000000002FF0: C0021100 00000100
	s_load_dword s69, s[0:1], 0x110                            // 000000002FF8: C0021140 00000110
	s_load_dword s70, s[0:1], 0x120                            // 000000003000: C0021180 00000120
	s_load_dword s71, s[0:1], 0x130                            // 000000003008: C00211C0 00000130
	s_load_dword s72, s[0:1], 0x140                            // 000000003010: C0021200 00000140
	s_load_dword s73, s[0:1], 0x150                            // 000000003018: C0021240 00000150
	s_load_dword s74, s[0:1], 0x160                            // 000000003020: C0021280 00000160
	s_load_dword s75, s[0:1], 0x170                            // 000000003028: C00212C0 00000170
	s_load_dword s76, s[0:1], 0x180                            // 000000003030: C0021300 00000180
	s_mov_b32 s2, s2                                           // 000000003038: BE820002
	s_mov_b32 s3, s3                                           // 00000000303C: BE830003
	s_mov_b32 s4, s4                                           // 000000003040: BE840004
	s_waitcnt lgkmcnt(0)                                       // 000000003044: BF8CC07F
	s_and_b32 s51, s51, 0xffff                                 // 000000003048: 8633FF33 0000FFFF
	s_load_dword s66, s[50:51], 0x4                            // 000000003050: C0021099 00000004
	s_load_dword s50, s[50:51], 0x0                            // 000000003058: C0020C99 00000000
	s_waitcnt lgkmcnt(0)                                       // 000000003060: BF8CC07F
	s_and_b32 s45, s45, 0xffff                                 // 000000003064: 862DFF2D 0000FFFF
	s_and_b32 s47, s47, 0xffff                                 // 00000000306C: 862FFF2F 0000FFFF
	s_and_b32 s9, s9, 0xffff                                   // 000000003074: 8609FF09 0000FFFF
	s_mul_i32 s60, s66, s68                                    // 00000000307C: 923C4442
	s_mul_i32 s61, s66, 4                                      // 000000003080: 923D8442
	s_mov_b32 s22, s60                                         // 000000003084: BE96003C
	s_mov_b32 s26, -16                                         // 000000003088: BE9A00D0
	s_mov_b32 s14, -16                                         // 00000000308C: BE8E00D0
	s_mov_b32 s42, -16                                         // 000000003090: BEAA00D0
	s_mov_b32 s30, s61                                         // 000000003094: BE9E003D
	s_mov_b32 s34, 0x400                                       // 000000003098: BEA200FF 00000400
	s_mov_b32 s38, 0x400                                       // 0000000030A0: BEA600FF 00000400
	s_mov_b32 s18, -16                                         // 0000000030A8: BE9200D0
	s_mov_b32 s23, 0x20000                                     // 0000000030AC: BE9700FF 00020000
	s_mov_b32 s27, 0x20000                                     // 0000000030B4: BE9B00FF 00020000
	s_mov_b32 s15, 0x20000                                     // 0000000030BC: BE8F00FF 00020000
	s_mov_b32 s43, 0x20000                                     // 0000000030C4: BEAB00FF 00020000
	s_mov_b32 s31, 0x20000                                     // 0000000030CC: BE9F00FF 00020000
	s_mov_b32 s35, 0x20000                                     // 0000000030D4: BEA300FF 00020000
	s_mov_b32 s39, 0x20000                                     // 0000000030DC: BEA700FF 00020000
	s_mov_b32 s19, 0x20000                                     // 0000000030E4: BE9300FF 00020000
	s_and_b32 s21, s21, 0xffff                                 // 0000000030EC: 8615FF15 0000FFFF
	s_and_b32 s25, s25, 0xffff                                 // 0000000030F4: 8619FF19 0000FFFF
	s_and_b32 s13, s13, 0xffff                                 // 0000000030FC: 860DFF0D 0000FFFF
	s_and_b32 s41, s41, 0xffff                                 // 000000003104: 8629FF29 0000FFFF
	s_and_b32 s29, s29, 0xffff                                 // 00000000310C: 861DFF1D 0000FFFF
	s_and_b32 s33, s33, 0xffff                                 // 000000003114: 8621FF21 0000FFFF
	s_and_b32 s37, s37, 0xffff                                 // 00000000311C: 8625FF25 0000FFFF
	s_and_b32 s17, s17, 0xffff                                 // 000000003124: 8611FF11 0000FFFF
	s_or_b32 s21, s21, 0x40000                                 // 00000000312C: 8715FF15 00040000
	s_or_b32 s25, s25, 0x40000                                 // 000000003134: 8719FF19 00040000
	s_or_b32 s13, s13, 0x40000                                 // 00000000313C: 870DFF0D 00040000
	s_or_b32 s41, s41, 0x40000                                 // 000000003144: 8729FF29 00040000
	s_or_b32 s29, s29, 0x40000                                 // 00000000314C: 871DFF1D 00040000
	s_or_b32 s33, s33, 0x40000                                 // 000000003154: 8721FF21 00040000
	s_or_b32 s37, s37, 0x40000                                 // 00000000315C: 8725FF25 00040000
	s_or_b32 s17, s17, 0x40000                                 // 000000003164: 8711FF11 00040000
	v_accvgpr_write_b32 a127, 0                                // 00000000316C: D3D9407F 18000080
	v_mov_b32_e32 v223, 0                                      // 000000003174: 7FBE0280
	s_waitcnt lgkmcnt(0)                                       // 000000003178: BF8CC07F
	s_mul_i32 s60, s3, 32                                      // 00000000317C: 923CA003
	s_cmp_lt_i32 s60, s50                                      // 000000003180: BF04323C
	s_cbranch_scc0 label_173D                                  // 000000003184: BF84165B
	s_mov_b32 s80, 0                                           // 000000003188: BED00080
	s_mov_b32 s81, s64                                         // 00000000318C: BED10040
	s_mul_i32 s60, s3, 4                                       // 000000003190: 923C8403
	s_add_u32 s46, s60, s46                                    // 000000003194: 802E2E3C
	s_addc_u32 s47, 0, s47                                     // 000000003198: 822F2F80
	s_load_dword s5, s[46:47], 0x0                             // 00000000319C: C0020157 00000000
	s_mul_i32 s60, s3, 32                                      // 0000000031A4: 923CA003
	s_mul_i32 s60, 4, s60                                      // 0000000031A8: 923C3C84
	v_and_b32_e32 v46, 15, v0                                  // 0000000031AC: 265C008F
	v_lshlrev_b32_e32 v46, 2, v46                              // 0000000031B0: 245C5C82
	v_add_u32_e32 v46, s60, v46                                // 0000000031B4: 685C5C3C
	v_mov_b32_e32 v47, 0                                       // 0000000031B8: 7E5E0280
	global_load_dword v6, v46, s[44:45]                        // 0000000031BC: DC508000 062C002E
	v_add_u32_e32 v46, 64, v46                                 // 0000000031C4: 685C5CC0
	global_load_dword v7, v46, s[44:45]                        // 0000000031C8: DC508000 072C002E
	s_mul_i32 s60, s3, 32                                      // 0000000031D0: 923CA003
	s_add_u32 s60, s7, s60                                     // 0000000031D4: 803C3C07
	s_mul_i32 s60, 4, s60                                      // 0000000031D8: 923C3C84
	s_add_u32 s44, s60, s44                                    // 0000000031DC: 802C2C3C
	s_addc_u32 s45, 0, s45                                     // 0000000031E0: 822D2D80
	s_load_dword s82, s[44:45], 0x0                            // 0000000031E4: C0021496 00000000
	s_load_dword s83, s[44:45], 0x10                           // 0000000031EC: C00214D6 00000010
	s_load_dword s84, s[44:45], 0x20                           // 0000000031F4: C0021516 00000020
	s_load_dword s85, s[44:45], 0x30                           // 0000000031FC: C0021556 00000030
	s_load_dword s86, s[44:45], 0x40                           // 000000003204: C0021596 00000040
	s_load_dword s87, s[44:45], 0x50                           // 00000000320C: C00215D6 00000050
	s_load_dword s88, s[44:45], 0x60                           // 000000003214: C0021616 00000060
	s_load_dword s89, s[44:45], 0x70                           // 00000000321C: C0021656 00000070
	s_waitcnt lgkmcnt(0)                                       // 000000003224: BF8CC07F
	v_lshlrev_b32_e32 v46, 2, v0                               // 000000003228: 245C0082
	s_and_b32 s82, s82, 0xffffff                               // 00000000322C: 8652FF52 00FFFFFF
	s_mul_i32 s60, s82, s68                                    // 000000003234: 923C4452
	v_add_u32_e64 v24, v46, s60                                // 000000003238: D1340018 0000792E
	s_and_b32 s83, s83, 0xffffff                               // 000000003240: 8653FF53 00FFFFFF
	s_mul_i32 s60, s83, s68                                    // 000000003248: 923C4453
	v_add_u32_e64 v25, v46, s60                                // 00000000324C: D1340019 0000792E
	s_and_b32 s84, s84, 0xffffff                               // 000000003254: 8654FF54 00FFFFFF
	s_mul_i32 s60, s84, s68                                    // 00000000325C: 923C4454
	v_add_u32_e64 v26, v46, s60                                // 000000003260: D134001A 0000792E
	s_and_b32 s85, s85, 0xffffff                               // 000000003268: 8655FF55 00FFFFFF
	s_mul_i32 s60, s85, s68                                    // 000000003270: 923C4455
	v_add_u32_e64 v27, v46, s60                                // 000000003274: D134001B 0000792E
	s_and_b32 s86, s86, 0xffffff                               // 00000000327C: 8656FF56 00FFFFFF
	s_mul_i32 s60, s86, s68                                    // 000000003284: 923C4456
	v_add_u32_e64 v28, v46, s60                                // 000000003288: D134001C 0000792E
	s_and_b32 s87, s87, 0xffffff                               // 000000003290: 8657FF57 00FFFFFF
	s_mul_i32 s60, s87, s68                                    // 000000003298: 923C4457
	v_add_u32_e64 v29, v46, s60                                // 00000000329C: D134001D 0000792E
	s_and_b32 s88, s88, 0xffffff                               // 0000000032A4: 8658FF58 00FFFFFF
	s_mul_i32 s60, s88, s68                                    // 0000000032AC: 923C4458
	v_add_u32_e64 v30, v46, s60                                // 0000000032B0: D134001E 0000792E
	s_and_b32 s89, s89, 0xffffff                               // 0000000032B8: 8659FF59 00FFFFFF
	s_mul_i32 s60, s89, s68                                    // 0000000032C0: 923C4459
	v_add_u32_e64 v31, v46, s60                                // 0000000032C4: D134001F 0000792E
	v_lshlrev_b32_e32 v46, 2, v0                               // 0000000032CC: 245C0082
	s_mul_i32 s60, s82, s71                                    // 0000000032D0: 923C4752
	v_add_u32_e64 v80, v46, s60                                // 0000000032D4: D1340050 0000792E
	v_mov_b32_e32 v81, 0                                       // 0000000032DC: 7EA20280
	s_mul_i32 s60, s83, s71                                    // 0000000032E0: 923C4753
	v_add_u32_e64 v82, v46, s60                                // 0000000032E4: D1340052 0000792E
	v_mov_b32_e32 v83, 0                                       // 0000000032EC: 7EA60280
	s_mul_i32 s60, s84, s71                                    // 0000000032F0: 923C4754
	v_add_u32_e64 v84, v46, s60                                // 0000000032F4: D1340054 0000792E
	v_mov_b32_e32 v85, 0                                       // 0000000032FC: 7EAA0280
	s_mul_i32 s60, s85, s71                                    // 000000003300: 923C4755
	v_add_u32_e64 v86, v46, s60                                // 000000003304: D1340056 0000792E
	v_mov_b32_e32 v87, 0                                       // 00000000330C: 7EAE0280
	s_mul_i32 s60, s86, s71                                    // 000000003310: 923C4756
	v_add_u32_e64 v88, v46, s60                                // 000000003314: D1340058 0000792E
	v_mov_b32_e32 v89, 0                                       // 00000000331C: 7EB20280
	s_mul_i32 s60, s87, s71                                    // 000000003320: 923C4757
	v_add_u32_e64 v90, v46, s60                                // 000000003324: D134005A 0000792E
	v_mov_b32_e32 v91, 0                                       // 00000000332C: 7EB60280
	s_mul_i32 s60, s88, s71                                    // 000000003330: 923C4758
	v_add_u32_e64 v92, v46, s60                                // 000000003334: D134005C 0000792E
	v_mov_b32_e32 v93, 0                                       // 00000000333C: 7EBA0280
	s_mul_i32 s60, s89, s71                                    // 000000003340: 923C4759
	v_add_u32_e64 v94, v46, s60                                // 000000003344: D134005E 0000792E
	v_mov_b32_e32 v95, 0                                       // 00000000334C: 7EBE0280
	s_mul_i32 s60, s7, 0x820                                   // 000000003350: 923CFF07 00000820
	s_add_u32 s50, 0, s60                                      // 000000003358: 80323C80
	s_add_u32 s51, 0x2080, s50                                 // 00000000335C: 803332FF 00002080
	v_lshrrev_b32_e32 v46, 4, v0                               // 000000003364: 205C0084
	v_lshlrev_b32_e32 v47, 2, v46                              // 000000003368: 245E5C82
	v_and_b32_e32 v46, 15, v0                                  // 00000000336C: 265C008F
	v_lshrrev_b32_e32 v48, 2, v46                              // 000000003370: 20605C82
	v_lshlrev_b32_e32 v48, 6, v48                              // 000000003374: 24606086
	v_add_u32_e32 v47, v48, v47                                // 000000003378: 685E5F30
	v_and_b32_e32 v46, 3, v0                                   // 00000000337C: 265C0083
	v_mul_i32_i24_e32 v48, 0x208, v46                          // 000000003380: 0C605CFF 00000208
	v_add_u32_e32 v47, v48, v47                                // 000000003388: 685E5F30
	v_lshlrev_b32_e32 v2, 2, v47                               // 00000000338C: 24045E82
	s_mul_i32 s60, s2, 0x100                                   // 000000003390: 923CFF02 00000100
	s_mul_i32 s60, s60, s69                                    // 000000003398: 923C453C
	s_mul_i32 s61, s5, s72                                     // 00000000339C: 923D4805
	s_add_u32 s60, s61, s60                                    // 0000000033A0: 803C3C3D
	s_add_u32 s24, s60, s24                                    // 0000000033A4: 8018183C
	s_addc_u32 s25, 0, s25                                     // 0000000033A8: 82191980
	s_mul_i32 s60, s7, 16                                      // 0000000033AC: 923C9007
	s_mul_i32 s60, s60, s69                                    // 0000000033B0: 923C453C
	v_lshlrev_b32_e32 v32, 4, v0                               // 0000000033B4: 24400084
	v_add_u32_e32 v32, s60, v32                                // 0000000033B8: 6840403C
	s_mul_i32 s60, 64, s69                                     // 0000000033BC: 923C45C0
	v_add_u32_e32 v33, s60, v32                                // 0000000033C0: 6842403C
	v_add_u32_e32 v34, s60, v33                                // 0000000033C4: 6844423C
	v_add_u32_e32 v35, s60, v34                                // 0000000033C8: 6846443C
	s_mov_b32 s92, s24                                         // 0000000033CC: BEDC0018
	s_mov_b32 s93, s25                                         // 0000000033D0: BEDD0019
	s_mov_b32 s94, s26                                         // 0000000033D4: BEDE001A
	s_mov_b32 s95, s27                                         // 0000000033D8: BEDF001B
	s_mul_i32 s60, s69, s65                                    // 0000000033DC: 923C4145
	s_add_u32 s92, s60, s92                                    // 0000000033E0: 805C5C3C
	s_addc_u32 s93, 0, s93                                     // 0000000033E4: 825D5D80
	s_mul_i32 s60, s2, 0x1000                                  // 0000000033E8: 923CFF02 00001000
	s_mul_i32 s61, s5, s73                                     // 0000000033F0: 923D4905
	s_add_u32 s60, s61, s60                                    // 0000000033F4: 803C3C3D
	s_add_u32 s12, s60, s12                                    // 0000000033F8: 800C0C3C
	s_addc_u32 s13, 0, s13                                     // 0000000033FC: 820D0D80
	s_mul_i32 s60, s7, 16                                      // 000000003400: 923C9007
	s_mul_i32 s60, s60, s70                                    // 000000003404: 923C463C
	v_lshlrev_b32_e32 v36, 4, v0                               // 000000003408: 24480084
	v_add_u32_e32 v36, s60, v36                                // 00000000340C: 6848483C
	s_mul_i32 s60, 64, s70                                     // 000000003410: 923C46C0
	v_add_u32_e32 v37, s60, v36                                // 000000003414: 684A483C
	v_add_u32_e32 v38, s60, v37                                // 000000003418: 684C4A3C
	v_add_u32_e32 v39, s60, v38                                // 00000000341C: 684E4C3C
	s_mul_i32 s60, s70, 0x100                                  // 000000003420: 923CFF46 00000100
	s_mov_b32 s78, 0x400                                       // 000000003428: BECE00FF 00000400
	s_mul_i32 s61, s78, 3                                      // 000000003430: 923D834E
	s_sub_u32 s56, s60, s61                                    // 000000003434: 80B83D3C
	s_mul_i32 s60, s3, 32                                      // 000000003438: 923CA003
	s_mul_i32 s60, 4, s60                                      // 00000000343C: 923C3C84
	s_add_u32 s40, s60, s40                                    // 000000003440: 8028283C
	s_addc_u32 s41, 0, s41                                     // 000000003444: 82292980
	v_and_b32_e32 v46, 15, v0                                  // 000000003448: 265C008F
	v_lshlrev_b32_e32 v8, 2, v46                               // 00000000344C: 24105C82
	v_add_u32_e32 v9, 64, v8                                   // 000000003450: 681210C0
	v_lshrrev_b32_e32 v46, 4, v0                               // 000000003454: 205C0084
	v_lshlrev_b32_e32 v47, 2, v46                              // 000000003458: 245E5C82
	v_and_b32_e32 v46, 15, v0                                  // 00000000345C: 265C008F
	v_lshrrev_b32_e32 v48, 2, v46                              // 000000003460: 20605C82
	v_lshlrev_b32_e32 v48, 6, v48                              // 000000003464: 24606086
	v_add_u32_e32 v47, v48, v47                                // 000000003468: 685E5F30
	v_and_b32_e32 v46, 3, v0                                   // 00000000346C: 265C0083
	v_add_u32_e32 v47, v46, v47                                // 000000003470: 685E5F2E
	v_lshlrev_b32_e32 v10, 2, v47                              // 000000003474: 24145E82
	v_add_u32_e32 v11, 0x400, v10                              // 000000003478: 681614FF 00000400
	s_mul_i32 s60, s7, 16                                      // 000000003480: 923C9007
	s_mul_i32 s60, s60, 4                                      // 000000003484: 923C843C
	v_add_u32_e32 v10, s60, v10                                // 000000003488: 6814143C
	v_add_u32_e32 v11, s60, v11                                // 00000000348C: 6816163C
	v_mov_b32_e32 v5, v10                                      // 000000003490: 7E0A030A
	s_mul_i32 s60, s2, 0x100                                   // 000000003494: 923CFF02 00000100
	s_mul_i32 s60, s60, 4                                      // 00000000349C: 923C843C
	s_mul_i32 s61, s5, s74                                     // 0000000034A0: 923D4A05
	s_add_u32 s61, s61, s60                                    // 0000000034A4: 803D3C3D
	s_mul_i32 s62, s5, s76                                     // 0000000034A8: 923E4C05
	s_add_u32 s62, s62, s60                                    // 0000000034AC: 803E3C3E
	s_add_u32 s32, s61, s32                                    // 0000000034B0: 8020203D
	s_addc_u32 s33, 0, s33                                     // 0000000034B4: 82212180
	s_add_u32 s36, s62, s36                                    // 0000000034B8: 8024243E
	s_addc_u32 s37, 0, s37                                     // 0000000034BC: 82252580
	s_mul_i32 s60, s5, s75                                     // 0000000034C0: 923C4B05
	s_add_u32 s16, s60, s16                                    // 0000000034C4: 8010103C
	s_addc_u32 s17, 0, s17                                     // 0000000034C8: 82111180
	s_mov_b32 s57, 0x100                                       // 0000000034CC: BEB900FF 00000100
	s_mov_b32 s58, 0x1000                                      // 0000000034D4: BEBA00FF 00001000
	s_mov_b32 s79, 0x400                                       // 0000000034DC: BECF00FF 00000400
	s_mov_b32 s59, 0x200                                       // 0000000034E4: BEBB00FF 00000200
	s_mov_b32 s90, s58                                         // 0000000034EC: BEDA003A
	s_mov_b32 s52, 0x7060302                                   // 0000000034F0: BEB400FF 07060302
	s_mov_b32 s53, 0x400                                       // 0000000034F8: BEB500FF 00000400
	s_mov_b32 s54, 0x40100                                     // 000000003500: BEB600FF 00040100
	s_mov_b32 s55, 0x4020100                                   // 000000003508: BEB700FF 04020100
	s_mov_b32 s6, 0x3fb8aa3b                                   // 000000003510: BE8600FF 3FB8AA3B
	s_mov_b32 s77, 0xbd92220c                                  // 000000003518: BECD00FF BD92220C
	s_mov_b32 m0, s50                                          // 000000003520: BEFC0032
	v_mov_b32_e32 v1, 0xbfcc4231                               // 000000003524: 7E0202FF BFCC4231
	v_mov_b32_e32 v41, 0xffff0000                              // 00000000352C: 7E5202FF FFFF0000
	v_mov_b32_e32 v42, 0x7fff0000                              // 000000003534: 7E5402FF 7FFF0000
	v_mov_b32_e32 v43, 0x7fff                                  // 00000000353C: 7E5602FF 00007FFF
	s_waitcnt vmcnt(0) expcnt(0) lgkmcnt(0)                    // 000000003544: BF8C0000
	v_and_b32_e32 v6, 0xffffff, v6                             // 000000003548: 260C0CFF 00FFFFFF
	v_and_b32_e32 v7, 0xffffff, v7                             // 000000003550: 260E0EFF 00FFFFFF
	v_lshlrev_b32_e32 v6, 2, v6                                // 000000003558: 240C0C82
	v_lshlrev_b32_e32 v7, 2, v7                                // 00000000355C: 240E0E82
	buffer_load_dword v13, v6, s[28:31], 0 offen               // 000000003560: E0501000 80070D06
	buffer_load_dword v14, v7, s[28:31], 0 offen               // 000000003568: E0501000 80070E07
	buffer_load_dword v15, v10, s[32:35], 0 offen              // 000000003570: E0501000 80080F0A
	buffer_load_dword v16, v11, s[32:35], 0 offen              // 000000003578: E0501000 8008100B
	s_mul_i32 s60, 4, s65                                      // 000000003580: 923C4184
	s_add_u32 s32, s60, s32                                    // 000000003584: 8020203C
	s_addc_u32 s33, 0, s33                                     // 000000003588: 82212180
	buffer_load_dword v44, v10, s[32:35], 0 offen              // 00000000358C: E0501000 80082C0A
	buffer_load_dword v45, v11, s[32:35], 0 offen              // 000000003594: E0501000 80082D0B
	buffer_load_dword v17, v8, s[40:43], 0 offen               // 00000000359C: E0501000 800A1108
	buffer_load_dword v18, v9, s[40:43], 0 offen               // 0000000035A4: E0501000 800A1209
	buffer_load_dword v24, s[20:23], 0 offen lds               // 0000000035AC: E0511000 80050018
	s_add_u32 m0, 0x100, s50                                   // 0000000035B4: 807C32FF 00000100
	buffer_load_dword v25, s[20:23], 0 offen lds               // 0000000035BC: E0511000 80050019
	s_add_u32 m0, 0x200, s50                                   // 0000000035C4: 807C32FF 00000200
	buffer_load_dword v26, s[20:23], 0 offen lds               // 0000000035CC: E0511000 8005001A
	s_add_u32 m0, 0x300, s50                                   // 0000000035D4: 807C32FF 00000300
	buffer_load_dword v27, s[20:23], 0 offen lds               // 0000000035DC: E0511000 8005001B
	s_add_u32 m0, 0x400, s50                                   // 0000000035E4: 807C32FF 00000400
	buffer_load_dword v28, s[20:23], 0 offen lds               // 0000000035EC: E0511000 8005001C
	s_add_u32 m0, 0x500, s50                                   // 0000000035F4: 807C32FF 00000500
	buffer_load_dword v29, s[20:23], 0 offen lds               // 0000000035FC: E0511000 8005001D
	s_add_u32 m0, 0x600, s50                                   // 000000003604: 807C32FF 00000600
	buffer_load_dword v30, s[20:23], 0 offen lds               // 00000000360C: E0511000 8005001E
	s_add_u32 m0, 0x700, s50                                   // 000000003614: 807C32FF 00000700
	buffer_load_dword v31, s[20:23], 0 offen lds               // 00000000361C: E0511000 8005001F
	s_add_u32 m0, 0, s51                                       // 000000003624: 807C3380
	s_add_u32 s20, s57, s20                                    // 000000003628: 80141439
	s_addc_u32 s21, 0, s21                                     // 00000000362C: 82151580
	buffer_load_dwordx4 a[0:3], v32, s[24:27], 0 offen         // 000000003630: E05C1000 80860020
	buffer_load_dwordx4 a[4:7], v32, s[24:27], 0 offen offset:1024// 000000003638: E05C1400 80860420
	buffer_load_dwordx4 a[8:11], v32, s[24:27], 0 offen offset:2048// 000000003640: E05C1800 80860820
	buffer_load_dwordx4 a[12:15], v32, s[24:27], 0 offen offset:3072// 000000003648: E05C1C00 80860C20
	buffer_load_dwordx4 a[16:19], v33, s[24:27], 0 offen       // 000000003650: E05C1000 80861021
	buffer_load_dwordx4 a[20:23], v33, s[24:27], 0 offen offset:1024// 000000003658: E05C1400 80861421
	buffer_load_dwordx4 a[24:27], v33, s[24:27], 0 offen offset:2048// 000000003660: E05C1800 80861821
	buffer_load_dwordx4 a[28:31], v33, s[24:27], 0 offen offset:3072// 000000003668: E05C1C00 80861C21
	buffer_load_dwordx4 a[32:35], v34, s[24:27], 0 offen       // 000000003670: E05C1000 80862022
	buffer_load_dwordx4 a[36:39], v34, s[24:27], 0 offen offset:1024// 000000003678: E05C1400 80862422
	buffer_load_dwordx4 a[40:43], v34, s[24:27], 0 offen offset:2048// 000000003680: E05C1800 80862822
	buffer_load_dwordx4 a[44:47], v34, s[24:27], 0 offen offset:3072// 000000003688: E05C1C00 80862C22
	buffer_load_dwordx4 a[48:51], v35, s[24:27], 0 offen       // 000000003690: E05C1000 80863023
	buffer_load_dwordx4 a[52:55], v35, s[24:27], 0 offen offset:1024// 000000003698: E05C1400 80863423
	buffer_load_dwordx4 a[56:59], v35, s[24:27], 0 offen offset:2048// 0000000036A0: E05C1800 80863823
	buffer_load_dwordx4 a[60:63], v35, s[24:27], 0 offen offset:3072// 0000000036A8: E05C1C00 80863C23
	s_add_u32 s24, s58, s24                                    // 0000000036B0: 8018183A
	s_addc_u32 s25, 0, s25                                     // 0000000036B4: 82191980
	v_mov_b32_e32 v128, 0                                      // 0000000036B8: 7F000280
	v_mov_b32_e32 v64, 0                                       // 0000000036BC: 7E800280
	v_mov_b32_e32 v129, 0                                      // 0000000036C0: 7F020280
	v_mov_b32_e32 v65, 0                                       // 0000000036C4: 7E820280
	v_mov_b32_e32 v130, 0                                      // 0000000036C8: 7F040280
	v_mov_b32_e32 v66, 0                                       // 0000000036CC: 7E840280
	v_mov_b32_e32 v131, 0                                      // 0000000036D0: 7F060280
	v_mov_b32_e32 v67, 0                                       // 0000000036D4: 7E860280
	v_mov_b32_e32 v132, 0                                      // 0000000036D8: 7F080280
	v_mov_b32_e32 v68, 0                                       // 0000000036DC: 7E880280
	v_mov_b32_e32 v133, 0                                      // 0000000036E0: 7F0A0280
	v_mov_b32_e32 v69, 0                                       // 0000000036E4: 7E8A0280
	v_mov_b32_e32 v134, 0                                      // 0000000036E8: 7F0C0280
	v_mov_b32_e32 v70, 0                                       // 0000000036EC: 7E8C0280
	v_mov_b32_e32 v135, 0                                      // 0000000036F0: 7F0E0280
	v_mov_b32_e32 v71, 0                                       // 0000000036F4: 7E8E0280
	v_mov_b32_e32 v136, 0                                      // 0000000036F8: 7F100280
	v_mov_b32_e32 v72, 0                                       // 0000000036FC: 7E900280
	v_mov_b32_e32 v137, 0                                      // 000000003700: 7F120280
	v_mov_b32_e32 v73, 0                                       // 000000003704: 7E920280
	v_mov_b32_e32 v138, 0                                      // 000000003708: 7F140280
	v_mov_b32_e32 v74, 0                                       // 00000000370C: 7E940280
	v_mov_b32_e32 v139, 0                                      // 000000003710: 7F160280
	v_mov_b32_e32 v75, 0                                       // 000000003714: 7E960280
	v_mov_b32_e32 v140, 0                                      // 000000003718: 7F180280
	v_mov_b32_e32 v76, 0                                       // 00000000371C: 7E980280
	v_mov_b32_e32 v141, 0                                      // 000000003720: 7F1A0280
	v_mov_b32_e32 v77, 0                                       // 000000003724: 7E9A0280
	v_mov_b32_e32 v142, 0                                      // 000000003728: 7F1C0280
	v_mov_b32_e32 v78, 0                                       // 00000000372C: 7E9C0280
	v_mov_b32_e32 v143, 0                                      // 000000003730: 7F1E0280
	v_mov_b32_e32 v79, 0                                       // 000000003734: 7E9E0280
	v_mov_b32_e32 v144, 0                                      // 000000003738: 7F200280
	v_mov_b32_e32 v80, 0                                       // 00000000373C: 7EA00280
	v_mov_b32_e32 v145, 0                                      // 000000003740: 7F220280
	v_mov_b32_e32 v81, 0                                       // 000000003744: 7EA20280
	v_mov_b32_e32 v146, 0                                      // 000000003748: 7F240280
	v_mov_b32_e32 v82, 0                                       // 00000000374C: 7EA40280
	v_mov_b32_e32 v147, 0                                      // 000000003750: 7F260280
	v_mov_b32_e32 v83, 0                                       // 000000003754: 7EA60280
	v_mov_b32_e32 v148, 0                                      // 000000003758: 7F280280
	v_mov_b32_e32 v84, 0                                       // 00000000375C: 7EA80280
	v_mov_b32_e32 v149, 0                                      // 000000003760: 7F2A0280
	v_mov_b32_e32 v85, 0                                       // 000000003764: 7EAA0280
	v_mov_b32_e32 v150, 0                                      // 000000003768: 7F2C0280
	v_mov_b32_e32 v86, 0                                       // 00000000376C: 7EAC0280
	v_mov_b32_e32 v151, 0                                      // 000000003770: 7F2E0280
	v_mov_b32_e32 v87, 0                                       // 000000003774: 7EAE0280
	v_mov_b32_e32 v152, 0                                      // 000000003778: 7F300280
	v_mov_b32_e32 v88, 0                                       // 00000000377C: 7EB00280
	v_mov_b32_e32 v153, 0                                      // 000000003780: 7F320280
	v_mov_b32_e32 v89, 0                                       // 000000003784: 7EB20280
	v_mov_b32_e32 v154, 0                                      // 000000003788: 7F340280
	v_mov_b32_e32 v90, 0                                       // 00000000378C: 7EB40280
	v_mov_b32_e32 v155, 0                                      // 000000003790: 7F360280
	v_mov_b32_e32 v91, 0                                       // 000000003794: 7EB60280
	v_mov_b32_e32 v156, 0                                      // 000000003798: 7F380280
	v_mov_b32_e32 v92, 0                                       // 00000000379C: 7EB80280
	v_mov_b32_e32 v157, 0                                      // 0000000037A0: 7F3A0280
	v_mov_b32_e32 v93, 0                                       // 0000000037A4: 7EBA0280
	v_mov_b32_e32 v158, 0                                      // 0000000037A8: 7F3C0280
	v_mov_b32_e32 v94, 0                                       // 0000000037AC: 7EBC0280
	v_mov_b32_e32 v159, 0                                      // 0000000037B0: 7F3E0280
	v_mov_b32_e32 v95, 0                                       // 0000000037B4: 7EBE0280
	v_lshrrev_b32_e32 v46, 4, v0                               // 0000000037B8: 205C0084
	v_mul_i32_i24_e32 v3, 34, v46                              // 0000000037BC: 0C065CA2
	v_and_b32_e32 v46, 15, v0                                  // 0000000037C0: 265C008F
	v_mul_i32_i24_e32 v47, 2, v46                              // 0000000037C4: 0C5E5C82
	v_add_u32_e32 v3, v47, v3                                  // 0000000037C8: 6806072F
	s_mul_i32 s60, s7, 0x88                                    // 0000000037CC: 923CFF07 00000088
	v_add_u32_e32 v3, s60, v3                                  // 0000000037D4: 6806063C
	v_lshlrev_b32_e32 v3, 2, v3                                // 0000000037D8: 24060682
	v_lshrrev_b32_e32 v46, 1, v0                               // 0000000037DC: 205C0081
	v_mul_i32_i24_e32 v4, 34, v46                              // 0000000037E0: 0C085CA2
	v_and_b32_e32 v47, 1, v0                                   // 0000000037E4: 265E0081
	v_add_u32_e32 v4, v47, v4                                  // 0000000037E8: 6808092F
	s_mul_i32 s60, s7, 2                                       // 0000000037EC: 923C8207
	v_add_u32_e32 v4, s60, v4                                  // 0000000037F0: 6808083C
	v_lshlrev_b32_e32 v4, 2, v4                                // 0000000037F4: 24080882
	s_waitcnt vmcnt(16)                                        // 0000000037F8: BF8C4F70
	s_barrier                                                  // 0000000037FC: BF8A0000
	ds_read_b128 v[160:163], v2                                // 000000003800: D9FE0000 A0000002
	ds_read_b128 v[164:167], v2 offset:64                      // 000000003808: D9FE0040 A4000002
	ds_read_b128 v[168:171], v2 offset:128                     // 000000003810: D9FE0080 A8000002
	ds_read_b128 v[172:175], v2 offset:192                     // 000000003818: D9FE00C0 AC000002
	ds_read_b128 v[176:179], v2 offset:1024                    // 000000003820: D9FE0400 B0000002
	ds_read_b128 v[180:183], v2 offset:1088                    // 000000003828: D9FE0440 B4000002
	ds_read_b128 v[184:187], v2 offset:1152                    // 000000003830: D9FE0480 B8000002
	ds_read_b128 v[188:191], v2 offset:1216                    // 000000003838: D9FE04C0 BC000002
	s_cmp_lt_i32 s7, 2                                         // 000000003840: BF048207
	s_cbranch_scc0 label_0CE7                                  // 000000003844: BF840A55

0000000000003848 <label_0292>:
	s_waitcnt vmcnt(8) lgkmcnt(0)                              // 000000003848: BF8C0078
	s_barrier                                                  // 00000000384C: BF8A0000
	v_mfma_f32_16x16x32_fp8_fp8 v[128:131], a[0:1], v[160:161], v[128:131]// 000000003850: D3F30080 0E034100
	v_mfma_f32_16x16x32_fp8_fp8 v[128:131], a[2:3], v[162:163], v[128:131]// 000000003858: D3F30080 0E034502
	buffer_load_dwordx4 a[64:67], v32, s[92:95], 0 offen       // 000000003860: E05C1000 80974020
	v_mfma_f32_16x16x32_fp8_fp8 v[128:131], a[4:5], v[164:165], v[128:131]// 000000003868: D3F30080 0E034904
	v_mfma_f32_16x16x32_fp8_fp8 v[128:131], a[6:7], v[166:167], v[128:131]// 000000003870: D3F30080 0E034D06
	buffer_load_dword v24, s[20:23], 0 offen lds               // 000000003878: E0511000 80050018
	s_add_u32 m0, 0x100, s51                                   // 000000003880: 807C33FF 00000100
	v_mfma_f32_16x16x32_fp8_fp8 v[128:131], a[8:9], v[168:169], v[128:131]// 000000003888: D3F30080 0E035108
	v_mfma_f32_16x16x32_fp8_fp8 v[128:131], a[10:11], v[170:171], v[128:131]// 000000003890: D3F30080 0E03550A
	buffer_load_dwordx4 a[68:71], v32, s[92:95], 0 offen offset:1024// 000000003898: E05C1400 80974420
	v_mfma_f32_16x16x32_fp8_fp8 v[128:131], a[12:13], v[172:173], v[128:131]// 0000000038A0: D3F30080 0E03590C
	v_mfma_f32_16x16x32_fp8_fp8 v[128:131], a[14:15], v[174:175], v[128:131]// 0000000038A8: D3F30080 0E035D0E
	buffer_load_dword v25, s[20:23], 0 offen lds               // 0000000038B0: E0511000 80050019
	s_add_u32 m0, 0x200, s51                                   // 0000000038B8: 807C33FF 00000200
	v_mfma_f32_16x16x32_fp8_fp8 v[132:135], a[0:1], v[176:177], v[132:135]// 0000000038C0: D3F30084 0E136100
	v_mfma_f32_16x16x32_fp8_fp8 v[132:135], a[2:3], v[178:179], v[132:135]// 0000000038C8: D3F30084 0E136502
	buffer_load_dwordx4 a[72:75], v32, s[92:95], 0 offen offset:2048// 0000000038D0: E05C1800 80974820
	v_mfma_f32_16x16x32_fp8_fp8 v[132:135], a[4:5], v[180:181], v[132:135]// 0000000038D8: D3F30084 0E136904
	v_mfma_f32_16x16x32_fp8_fp8 v[132:135], a[6:7], v[182:183], v[132:135]// 0000000038E0: D3F30084 0E136D06
	buffer_load_dword v26, s[20:23], 0 offen lds               // 0000000038E8: E0511000 8005001A
	s_add_u32 m0, 0x300, s51                                   // 0000000038F0: 807C33FF 00000300
	v_mfma_f32_16x16x32_fp8_fp8 v[132:135], a[8:9], v[184:185], v[132:135]// 0000000038F8: D3F30084 0E137108
	v_mfma_f32_16x16x32_fp8_fp8 v[132:135], a[10:11], v[186:187], v[132:135]// 000000003900: D3F30084 0E13750A
	buffer_load_dwordx4 a[76:79], v32, s[92:95], 0 offen offset:3072// 000000003908: E05C1C00 80974C20
	v_mfma_f32_16x16x32_fp8_fp8 v[132:135], a[12:13], v[188:189], v[132:135]// 000000003910: D3F30084 0E13790C
	v_mfma_f32_16x16x32_fp8_fp8 v[132:135], a[14:15], v[190:191], v[132:135]// 000000003918: D3F30084 0E137D0E
	buffer_load_dword v27, s[20:23], 0 offen lds               // 000000003920: E0511000 8005001B
	s_add_u32 m0, 0x400, s51                                   // 000000003928: 807C33FF 00000400
	v_mfma_f32_16x16x32_fp8_fp8 v[136:139], a[16:17], v[160:161], v[136:139]// 000000003930: D3F30088 0E234110
	v_mfma_f32_16x16x32_fp8_fp8 v[136:139], a[18:19], v[162:163], v[136:139]// 000000003938: D3F30088 0E234512
	buffer_load_dwordx4 a[80:83], v33, s[92:95], 0 offen       // 000000003940: E05C1000 80975021
	v_mfma_f32_16x16x32_fp8_fp8 v[136:139], a[20:21], v[164:165], v[136:139]// 000000003948: D3F30088 0E234914
	v_mfma_f32_16x16x32_fp8_fp8 v[136:139], a[22:23], v[166:167], v[136:139]// 000000003950: D3F30088 0E234D16
	buffer_load_dword v28, s[20:23], 0 offen lds               // 000000003958: E0511000 8005001C
	s_add_u32 m0, 0x500, s51                                   // 000000003960: 807C33FF 00000500
	v_mfma_f32_16x16x32_fp8_fp8 v[136:139], a[24:25], v[168:169], v[136:139]// 000000003968: D3F30088 0E235118
	v_mfma_f32_16x16x32_fp8_fp8 v[136:139], a[26:27], v[170:171], v[136:139]// 000000003970: D3F30088 0E23551A
	buffer_load_dwordx4 a[84:87], v33, s[92:95], 0 offen offset:1024// 000000003978: E05C1400 80975421
	v_mfma_f32_16x16x32_fp8_fp8 v[136:139], a[28:29], v[172:173], v[136:139]// 000000003980: D3F30088 0E23591C
	v_mfma_f32_16x16x32_fp8_fp8 v[136:139], a[30:31], v[174:175], v[136:139]// 000000003988: D3F30088 0E235D1E
	buffer_load_dword v29, s[20:23], 0 offen lds               // 000000003990: E0511000 8005001D
	s_add_u32 m0, 0x600, s51                                   // 000000003998: 807C33FF 00000600
	v_mfma_f32_16x16x32_fp8_fp8 v[140:143], a[16:17], v[176:177], v[140:143]// 0000000039A0: D3F3008C 0E336110
	v_mfma_f32_16x16x32_fp8_fp8 v[140:143], a[18:19], v[178:179], v[140:143]// 0000000039A8: D3F3008C 0E336512
	buffer_load_dwordx4 a[88:91], v33, s[92:95], 0 offen offset:2048// 0000000039B0: E05C1800 80975821
	v_mfma_f32_16x16x32_fp8_fp8 v[140:143], a[20:21], v[180:181], v[140:143]// 0000000039B8: D3F3008C 0E336914
	v_mfma_f32_16x16x32_fp8_fp8 v[140:143], a[22:23], v[182:183], v[140:143]// 0000000039C0: D3F3008C 0E336D16
	buffer_load_dword v30, s[20:23], 0 offen lds               // 0000000039C8: E0511000 8005001E
	s_add_u32 m0, 0x700, s51                                   // 0000000039D0: 807C33FF 00000700
	v_mfma_f32_16x16x32_fp8_fp8 v[140:143], a[24:25], v[184:185], v[140:143]// 0000000039D8: D3F3008C 0E337118
	v_mfma_f32_16x16x32_fp8_fp8 v[140:143], a[26:27], v[186:187], v[140:143]// 0000000039E0: D3F3008C 0E33751A
	buffer_load_dwordx4 a[92:95], v33, s[92:95], 0 offen offset:3072// 0000000039E8: E05C1C00 80975C21
	v_mfma_f32_16x16x32_fp8_fp8 v[140:143], a[28:29], v[188:189], v[140:143]// 0000000039F0: D3F3008C 0E33791C
	v_mfma_f32_16x16x32_fp8_fp8 v[140:143], a[30:31], v[190:191], v[140:143]// 0000000039F8: D3F3008C 0E337D1E
	buffer_load_dword v31, s[20:23], 0 offen lds               // 000000003A00: E0511000 8005001F
	s_add_u32 m0, 0, s50                                       // 000000003A08: 807C3280
	s_waitcnt vmcnt(20)                                        // 000000003A0C: BF8C4F74
	v_mfma_f32_16x16x32_fp8_fp8 v[144:147], a[32:33], v[160:161], v[144:147]// 000000003A10: D3F30090 0E434120
	v_mfma_f32_16x16x32_fp8_fp8 v[144:147], a[34:35], v[162:163], v[144:147]// 000000003A18: D3F30090 0E434522
	buffer_load_dwordx4 a[96:99], v34, s[92:95], 0 offen       // 000000003A20: E05C1000 80976022
	v_mfma_f32_16x16x32_fp8_fp8 v[144:147], a[36:37], v[164:165], v[144:147]// 000000003A28: D3F30090 0E434924
	v_mfma_f32_16x16x32_fp8_fp8 v[144:147], a[38:39], v[166:167], v[144:147]// 000000003A30: D3F30090 0E434D26
	v_mfma_f32_16x16x32_fp8_fp8 v[144:147], a[40:41], v[168:169], v[144:147]// 000000003A38: D3F30090 0E435128
	v_mfma_f32_16x16x32_fp8_fp8 v[144:147], a[42:43], v[170:171], v[144:147]// 000000003A40: D3F30090 0E43552A
	buffer_load_dwordx4 a[100:103], v34, s[92:95], 0 offen offset:1024// 000000003A48: E05C1400 80976422
	v_mfma_f32_16x16x32_fp8_fp8 v[144:147], a[44:45], v[172:173], v[144:147]// 000000003A50: D3F30090 0E43592C
	v_mfma_f32_16x16x32_fp8_fp8 v[144:147], a[46:47], v[174:175], v[144:147]// 000000003A58: D3F30090 0E435D2E
	v_mfma_f32_16x16x32_fp8_fp8 v[148:151], a[32:33], v[176:177], v[148:151]// 000000003A60: D3F30094 0E536120
	v_mfma_f32_16x16x32_fp8_fp8 v[148:151], a[34:35], v[178:179], v[148:151]// 000000003A68: D3F30094 0E536522
	buffer_load_dwordx4 a[104:107], v34, s[92:95], 0 offen offset:2048// 000000003A70: E05C1800 80976822
	v_mfma_f32_16x16x32_fp8_fp8 v[148:151], a[36:37], v[180:181], v[148:151]// 000000003A78: D3F30094 0E536924
	v_mfma_f32_16x16x32_fp8_fp8 v[148:151], a[38:39], v[182:183], v[148:151]// 000000003A80: D3F30094 0E536D26
	v_mfma_f32_16x16x32_fp8_fp8 v[148:151], a[40:41], v[184:185], v[148:151]// 000000003A88: D3F30094 0E537128
	v_mfma_f32_16x16x32_fp8_fp8 v[148:151], a[42:43], v[186:187], v[148:151]// 000000003A90: D3F30094 0E53752A
	buffer_load_dwordx4 a[108:111], v34, s[92:95], 0 offen offset:3072// 000000003A98: E05C1C00 80976C22
	v_mfma_f32_16x16x32_fp8_fp8 v[148:151], a[44:45], v[188:189], v[148:151]// 000000003AA0: D3F30094 0E53792C
	v_mfma_f32_16x16x32_fp8_fp8 v[148:151], a[46:47], v[190:191], v[148:151]// 000000003AA8: D3F30094 0E537D2E
	s_waitcnt vmcnt(20)                                        // 000000003AB0: BF8C4F74
	v_mfma_f32_16x16x32_fp8_fp8 v[152:155], a[48:49], v[160:161], v[152:155]// 000000003AB4: D3F30098 0E634130
	v_mfma_f32_16x16x32_fp8_fp8 v[152:155], a[50:51], v[162:163], v[152:155]// 000000003ABC: D3F30098 0E634532
	buffer_load_dwordx4 a[112:115], v35, s[92:95], 0 offen     // 000000003AC4: E05C1000 80977023
	v_mfma_f32_16x16x32_fp8_fp8 v[152:155], a[52:53], v[164:165], v[152:155]// 000000003ACC: D3F30098 0E634934
	v_mfma_f32_16x16x32_fp8_fp8 v[152:155], a[54:55], v[166:167], v[152:155]// 000000003AD4: D3F30098 0E634D36
	v_mfma_f32_16x16x32_fp8_fp8 v[152:155], a[56:57], v[168:169], v[152:155]// 000000003ADC: D3F30098 0E635138
	v_mfma_f32_16x16x32_fp8_fp8 v[152:155], a[58:59], v[170:171], v[152:155]// 000000003AE4: D3F30098 0E63553A
	buffer_load_dwordx4 a[116:119], v35, s[92:95], 0 offen offset:1024// 000000003AEC: E05C1400 80977423
	v_mfma_f32_16x16x32_fp8_fp8 v[152:155], a[60:61], v[172:173], v[152:155]// 000000003AF4: D3F30098 0E63593C
	v_mfma_f32_16x16x32_fp8_fp8 v[152:155], a[62:63], v[174:175], v[152:155]// 000000003AFC: D3F30098 0E635D3E
	v_mfma_f32_16x16x32_fp8_fp8 v[156:159], a[48:49], v[176:177], v[156:159]// 000000003B04: D3F3009C 0E736130
	v_mfma_f32_16x16x32_fp8_fp8 v[156:159], a[50:51], v[178:179], v[156:159]// 000000003B0C: D3F3009C 0E736532
	buffer_load_dwordx4 a[120:123], v35, s[92:95], 0 offen offset:2048// 000000003B14: E05C1800 80977823
	v_mfma_f32_16x16x32_fp8_fp8 v[156:159], a[52:53], v[180:181], v[156:159]// 000000003B1C: D3F3009C 0E736934
	v_mfma_f32_16x16x32_fp8_fp8 v[156:159], a[54:55], v[182:183], v[156:159]// 000000003B24: D3F3009C 0E736D36
	v_mfma_f32_16x16x32_fp8_fp8 v[156:159], a[56:57], v[184:185], v[156:159]// 000000003B2C: D3F3009C 0E737138
	v_mfma_f32_16x16x32_fp8_fp8 v[156:159], a[58:59], v[186:187], v[156:159]// 000000003B34: D3F3009C 0E73753A
	buffer_load_dwordx4 a[124:127], v35, s[92:95], 0 offen offset:3072// 000000003B3C: E05C1C00 80977C23
	v_mfma_f32_16x16x32_fp8_fp8 v[156:159], a[60:61], v[188:189], v[156:159]// 000000003B44: D3F3009C 0E73793C
	v_mfma_f32_16x16x32_fp8_fp8 v[156:159], a[62:63], v[190:191], v[156:159]// 000000003B4C: D3F3009C 0E737D3E
	s_waitcnt vmcnt(8)                                         // 000000003B54: BF8C0F78
	s_barrier                                                  // 000000003B58: BF8A0000
	v_mfma_f32_16x16x32_fp8_fp8 v[64:67], a[64:65], v[160:161], v[64:67]// 000000003B5C: D3F30040 0D034140
	v_mfma_f32_16x16x32_fp8_fp8 v[64:67], a[66:67], v[162:163], v[64:67]// 000000003B64: D3F30040 0D034542
	buffer_load_dwordx4 a[0:3], v32, s[24:27], 0 offen         // 000000003B6C: E05C1000 80860020
	v_mfma_f32_16x16x32_fp8_fp8 v[64:67], a[68:69], v[164:165], v[64:67]// 000000003B74: D3F30040 0D034944
	v_mfma_f32_16x16x32_fp8_fp8 v[64:67], a[70:71], v[166:167], v[64:67]// 000000003B7C: D3F30040 0D034D46
	v_mfma_f32_16x16x32_fp8_fp8 v[64:67], a[72:73], v[168:169], v[64:67]// 000000003B84: D3F30040 0D035148
	v_mfma_f32_16x16x32_fp8_fp8 v[64:67], a[74:75], v[170:171], v[64:67]// 000000003B8C: D3F30040 0D03554A
	buffer_load_dwordx4 a[4:7], v32, s[24:27], 0 offen offset:1024// 000000003B94: E05C1400 80860420
	v_mfma_f32_16x16x32_fp8_fp8 v[64:67], a[76:77], v[172:173], v[64:67]// 000000003B9C: D3F30040 0D03594C
	v_mfma_f32_16x16x32_fp8_fp8 v[64:67], a[78:79], v[174:175], v[64:67]// 000000003BA4: D3F30040 0D035D4E
	v_mfma_f32_16x16x32_fp8_fp8 v[68:71], a[64:65], v[176:177], v[68:71]// 000000003BAC: D3F30044 0D136140
	v_mfma_f32_16x16x32_fp8_fp8 v[68:71], a[66:67], v[178:179], v[68:71]// 000000003BB4: D3F30044 0D136542
	buffer_load_dwordx4 a[8:11], v32, s[24:27], 0 offen offset:2048// 000000003BBC: E05C1800 80860820
	v_mfma_f32_16x16x32_fp8_fp8 v[68:71], a[68:69], v[180:181], v[68:71]// 000000003BC4: D3F30044 0D136944
	v_mfma_f32_16x16x32_fp8_fp8 v[68:71], a[70:71], v[182:183], v[68:71]// 000000003BCC: D3F30044 0D136D46
	v_mfma_f32_16x16x32_fp8_fp8 v[68:71], a[72:73], v[184:185], v[68:71]// 000000003BD4: D3F30044 0D137148
	v_mfma_f32_16x16x32_fp8_fp8 v[68:71], a[74:75], v[186:187], v[68:71]// 000000003BDC: D3F30044 0D13754A
	buffer_load_dwordx4 a[12:15], v32, s[24:27], 0 offen offset:3072// 000000003BE4: E05C1C00 80860C20
	v_mfma_f32_16x16x32_fp8_fp8 v[68:71], a[76:77], v[188:189], v[68:71]// 000000003BEC: D3F30044 0D13794C
	v_mfma_f32_16x16x32_fp8_fp8 v[68:71], a[78:79], v[190:191], v[68:71]// 000000003BF4: D3F30044 0D137D4E
	v_mfma_f32_16x16x32_fp8_fp8 v[72:75], a[80:81], v[160:161], v[72:75]// 000000003BFC: D3F30048 0D234150
	v_mfma_f32_16x16x32_fp8_fp8 v[72:75], a[82:83], v[162:163], v[72:75]// 000000003C04: D3F30048 0D234552
	buffer_load_dwordx4 a[16:19], v33, s[24:27], 0 offen       // 000000003C0C: E05C1000 80861021
	v_mfma_f32_16x16x32_fp8_fp8 v[72:75], a[84:85], v[164:165], v[72:75]// 000000003C14: D3F30048 0D234954
	v_mfma_f32_16x16x32_fp8_fp8 v[72:75], a[86:87], v[166:167], v[72:75]// 000000003C1C: D3F30048 0D234D56
	v_mfma_f32_16x16x32_fp8_fp8 v[72:75], a[88:89], v[168:169], v[72:75]// 000000003C24: D3F30048 0D235158
	v_mfma_f32_16x16x32_fp8_fp8 v[72:75], a[90:91], v[170:171], v[72:75]// 000000003C2C: D3F30048 0D23555A
	buffer_load_dwordx4 a[20:23], v33, s[24:27], 0 offen offset:1024// 000000003C34: E05C1400 80861421
	v_mfma_f32_16x16x32_fp8_fp8 v[72:75], a[92:93], v[172:173], v[72:75]// 000000003C3C: D3F30048 0D23595C
	v_mfma_f32_16x16x32_fp8_fp8 v[72:75], a[94:95], v[174:175], v[72:75]// 000000003C44: D3F30048 0D235D5E
	v_mfma_f32_16x16x32_fp8_fp8 v[76:79], a[80:81], v[176:177], v[76:79]// 000000003C4C: D3F3004C 0D336150
	v_mfma_f32_16x16x32_fp8_fp8 v[76:79], a[82:83], v[178:179], v[76:79]// 000000003C54: D3F3004C 0D336552
	buffer_load_dwordx4 a[24:27], v33, s[24:27], 0 offen offset:2048// 000000003C5C: E05C1800 80861821
	v_mfma_f32_16x16x32_fp8_fp8 v[76:79], a[84:85], v[180:181], v[76:79]// 000000003C64: D3F3004C 0D336954
	v_mfma_f32_16x16x32_fp8_fp8 v[76:79], a[86:87], v[182:183], v[76:79]// 000000003C6C: D3F3004C 0D336D56
	v_mfma_f32_16x16x32_fp8_fp8 v[76:79], a[88:89], v[184:185], v[76:79]// 000000003C74: D3F3004C 0D337158
	v_mfma_f32_16x16x32_fp8_fp8 v[76:79], a[90:91], v[186:187], v[76:79]// 000000003C7C: D3F3004C 0D33755A
	buffer_load_dwordx4 a[28:31], v33, s[24:27], 0 offen offset:3072// 000000003C84: E05C1C00 80861C21
	v_mfma_f32_16x16x32_fp8_fp8 v[76:79], a[92:93], v[188:189], v[76:79]// 000000003C8C: D3F3004C 0D33795C
	v_mfma_f32_16x16x32_fp8_fp8 v[76:79], a[94:95], v[190:191], v[76:79]// 000000003C94: D3F3004C 0D337D5E
	s_waitcnt vmcnt(12)                                        // 000000003C9C: BF8C0F7C
	v_mfma_f32_16x16x32_fp8_fp8 v[80:83], a[96:97], v[160:161], v[80:83]// 000000003CA0: D3F30050 0D434160
	v_mfma_f32_16x16x32_fp8_fp8 v[80:83], a[98:99], v[162:163], v[80:83]// 000000003CA8: D3F30050 0D434562
	buffer_load_dwordx4 a[32:35], v34, s[24:27], 0 offen       // 000000003CB0: E05C1000 80862022
	v_mfma_f32_16x16x32_fp8_fp8 v[80:83], a[100:101], v[164:165], v[80:83]// 000000003CB8: D3F30050 0D434964
	v_mfma_f32_16x16x32_fp8_fp8 v[80:83], a[102:103], v[166:167], v[80:83]// 000000003CC0: D3F30050 0D434D66
	ds_read_b128 v[192:195], v2 offset:8320                    // 000000003CC8: D9FE2080 C0000002
	v_mfma_f32_16x16x32_fp8_fp8 v[80:83], a[104:105], v[168:169], v[80:83]// 000000003CD0: D3F30050 0D435168
	v_mfma_f32_16x16x32_fp8_fp8 v[80:83], a[106:107], v[170:171], v[80:83]// 000000003CD8: D3F30050 0D43556A
	buffer_load_dwordx4 a[36:39], v34, s[24:27], 0 offen offset:1024// 000000003CE0: E05C1400 80862422
	v_mfma_f32_16x16x32_fp8_fp8 v[80:83], a[108:109], v[172:173], v[80:83]// 000000003CE8: D3F30050 0D43596C
	v_mfma_f32_16x16x32_fp8_fp8 v[80:83], a[110:111], v[174:175], v[80:83]// 000000003CF0: D3F30050 0D435D6E
	ds_read_b128 v[196:199], v2 offset:8384                    // 000000003CF8: D9FE20C0 C4000002
	v_mfma_f32_16x16x32_fp8_fp8 v[84:87], a[96:97], v[176:177], v[84:87]// 000000003D00: D3F30054 0D536160
	v_mfma_f32_16x16x32_fp8_fp8 v[84:87], a[98:99], v[178:179], v[84:87]// 000000003D08: D3F30054 0D536562
	buffer_load_dwordx4 a[40:43], v34, s[24:27], 0 offen offset:2048// 000000003D10: E05C1800 80862822
	v_mfma_f32_16x16x32_fp8_fp8 v[84:87], a[100:101], v[180:181], v[84:87]// 000000003D18: D3F30054 0D536964
	v_mfma_f32_16x16x32_fp8_fp8 v[84:87], a[102:103], v[182:183], v[84:87]// 000000003D20: D3F30054 0D536D66
	ds_read_b128 v[200:203], v2 offset:8448                    // 000000003D28: D9FE2100 C8000002
	v_mfma_f32_16x16x32_fp8_fp8 v[84:87], a[104:105], v[184:185], v[84:87]// 000000003D30: D3F30054 0D537168
	v_mfma_f32_16x16x32_fp8_fp8 v[84:87], a[106:107], v[186:187], v[84:87]// 000000003D38: D3F30054 0D53756A
	buffer_load_dwordx4 a[44:47], v34, s[24:27], 0 offen offset:3072// 000000003D40: E05C1C00 80862C22
	v_mfma_f32_16x16x32_fp8_fp8 v[84:87], a[108:109], v[188:189], v[84:87]// 000000003D48: D3F30054 0D53796C
	v_mfma_f32_16x16x32_fp8_fp8 v[84:87], a[110:111], v[190:191], v[84:87]// 000000003D50: D3F30054 0D537D6E
	ds_read_b128 v[204:207], v2 offset:8512                    // 000000003D58: D9FE2140 CC000002
	s_waitcnt vmcnt(12)                                        // 000000003D60: BF8C0F7C
	v_mfma_f32_16x16x32_fp8_fp8 v[88:91], a[112:113], v[160:161], v[88:91]// 000000003D64: D3F30058 0D634170
	v_mfma_f32_16x16x32_fp8_fp8 v[88:91], a[114:115], v[162:163], v[88:91]// 000000003D6C: D3F30058 0D634572
	buffer_load_dwordx4 a[48:51], v35, s[24:27], 0 offen       // 000000003D74: E05C1000 80863023
	v_mfma_f32_16x16x32_fp8_fp8 v[88:91], a[116:117], v[164:165], v[88:91]// 000000003D7C: D3F30058 0D634974
	v_mfma_f32_16x16x32_fp8_fp8 v[88:91], a[118:119], v[166:167], v[88:91]// 000000003D84: D3F30058 0D634D76
	ds_read_b128 v[208:211], v2 offset:9344                    // 000000003D8C: D9FE2480 D0000002
	v_mfma_f32_16x16x32_fp8_fp8 v[88:91], a[120:121], v[168:169], v[88:91]// 000000003D94: D3F30058 0D635178
	v_mfma_f32_16x16x32_fp8_fp8 v[88:91], a[122:123], v[170:171], v[88:91]// 000000003D9C: D3F30058 0D63557A
	buffer_load_dwordx4 a[52:55], v35, s[24:27], 0 offen offset:1024// 000000003DA4: E05C1400 80863423
	v_mfma_f32_16x16x32_fp8_fp8 v[88:91], a[124:125], v[172:173], v[88:91]// 000000003DAC: D3F30058 0D63597C
	v_mfma_f32_16x16x32_fp8_fp8 v[88:91], a[126:127], v[174:175], v[88:91]// 000000003DB4: D3F30058 0D635D7E
	ds_read_b128 v[212:215], v2 offset:9408                    // 000000003DBC: D9FE24C0 D4000002
	v_mfma_f32_16x16x32_fp8_fp8 v[92:95], a[112:113], v[176:177], v[92:95]// 000000003DC4: D3F3005C 0D736170
	v_mfma_f32_16x16x32_fp8_fp8 v[92:95], a[114:115], v[178:179], v[92:95]// 000000003DCC: D3F3005C 0D736572
	buffer_load_dwordx4 a[56:59], v35, s[24:27], 0 offen offset:2048// 000000003DD4: E05C1800 80863823
	v_mfma_f32_16x16x32_fp8_fp8 v[92:95], a[116:117], v[180:181], v[92:95]// 000000003DDC: D3F3005C 0D736974
	v_mfma_f32_16x16x32_fp8_fp8 v[92:95], a[118:119], v[182:183], v[92:95]// 000000003DE4: D3F3005C 0D736D76
	ds_read_b128 v[216:219], v2 offset:9472                    // 000000003DEC: D9FE2500 D8000002
	v_mfma_f32_16x16x32_fp8_fp8 v[92:95], a[120:121], v[184:185], v[92:95]// 000000003DF4: D3F3005C 0D737178
	v_mfma_f32_16x16x32_fp8_fp8 v[92:95], a[122:123], v[186:187], v[92:95]// 000000003DFC: D3F3005C 0D73757A
	buffer_load_dwordx4 a[60:63], v35, s[24:27], 0 offen offset:3072// 000000003E04: E05C1C00 80863C23
	v_mfma_f32_16x16x32_fp8_fp8 v[92:95], a[124:125], v[188:189], v[92:95]// 000000003E0C: D3F3005C 0D73797C
	v_mfma_f32_16x16x32_fp8_fp8 v[92:95], a[126:127], v[190:191], v[92:95]// 000000003E14: D3F3005C 0D737D7E
	ds_read_b128 v[220:223], v2 offset:9536                    // 000000003E1C: D9FE2540 DC000002
	s_add_u32 s60, 0x200, s80                                  // 000000003E24: 803C50FF 00000200
	s_cmp_lt_u32 s60, s81                                      // 000000003E2C: BF0A513C
	s_cselect_b32 s57, s57, 0                                  // 000000003E30: 85398039
	s_add_u32 s60, 0x200, s80                                  // 000000003E34: 803C50FF 00000200
	s_cmp_lt_u32 s60, s81                                      // 000000003E3C: BF0A513C
	s_cselect_b32 s58, s58, 0                                  // 000000003E40: 853A803A
	s_add_u32 s20, s57, s20                                    // 000000003E44: 80141439
	s_addc_u32 s21, 0, s21                                     // 000000003E48: 82151580
	s_add_u32 s24, s58, s24                                    // 000000003E4C: 8018183A
	s_addc_u32 s25, 0, s25                                     // 000000003E50: 82191980
	s_add_u32 s92, s90, s92                                    // 000000003E54: 805C5C5A
	s_addc_u32 s93, 0, s93                                     // 000000003E58: 825D5D80
	s_addk_i32 s80, 0x100                                      // 000000003E5C: B7500100
	s_cmp_lt_i32 s80, s81                                      // 000000003E60: BF045150
	s_cbranch_scc0 label_05A3                                  // 000000003E64: BF840189
	s_waitcnt vmcnt(8) lgkmcnt(0)                              // 000000003E68: BF8C0078
	s_barrier                                                  // 000000003E6C: BF8A0000
	v_mfma_f32_16x16x32_fp8_fp8 v[128:131], a[0:1], v[192:193], v[128:131]// 000000003E70: D3F30080 0E038100
	v_mfma_f32_16x16x32_fp8_fp8 v[128:131], a[2:3], v[194:195], v[128:131]// 000000003E78: D3F30080 0E038502
	buffer_load_dwordx4 a[64:67], v32, s[92:95], 0 offen       // 000000003E80: E05C1000 80974020
	v_mfma_f32_16x16x32_fp8_fp8 v[128:131], a[4:5], v[196:197], v[128:131]// 000000003E88: D3F30080 0E038904
	v_mfma_f32_16x16x32_fp8_fp8 v[128:131], a[6:7], v[198:199], v[128:131]// 000000003E90: D3F30080 0E038D06
	buffer_load_dword v24, s[20:23], 0 offen lds               // 000000003E98: E0511000 80050018
	s_add_u32 m0, 0x100, s50                                   // 000000003EA0: 807C32FF 00000100
	v_mfma_f32_16x16x32_fp8_fp8 v[128:131], a[8:9], v[200:201], v[128:131]// 000000003EA8: D3F30080 0E039108
	v_mfma_f32_16x16x32_fp8_fp8 v[128:131], a[10:11], v[202:203], v[128:131]// 000000003EB0: D3F30080 0E03950A
	buffer_load_dwordx4 a[68:71], v32, s[92:95], 0 offen offset:1024// 000000003EB8: E05C1400 80974420
	v_mfma_f32_16x16x32_fp8_fp8 v[128:131], a[12:13], v[204:205], v[128:131]// 000000003EC0: D3F30080 0E03990C
	v_mfma_f32_16x16x32_fp8_fp8 v[128:131], a[14:15], v[206:207], v[128:131]// 000000003EC8: D3F30080 0E039D0E
	buffer_load_dword v25, s[20:23], 0 offen lds               // 000000003ED0: E0511000 80050019
	s_add_u32 m0, 0x200, s50                                   // 000000003ED8: 807C32FF 00000200
	v_mfma_f32_16x16x32_fp8_fp8 v[132:135], a[0:1], v[208:209], v[132:135]// 000000003EE0: D3F30084 0E13A100
	v_mfma_f32_16x16x32_fp8_fp8 v[132:135], a[2:3], v[210:211], v[132:135]// 000000003EE8: D3F30084 0E13A502
	buffer_load_dwordx4 a[72:75], v32, s[92:95], 0 offen offset:2048// 000000003EF0: E05C1800 80974820
	v_mfma_f32_16x16x32_fp8_fp8 v[132:135], a[4:5], v[212:213], v[132:135]// 000000003EF8: D3F30084 0E13A904
	v_mfma_f32_16x16x32_fp8_fp8 v[132:135], a[6:7], v[214:215], v[132:135]// 000000003F00: D3F30084 0E13AD06
	buffer_load_dword v26, s[20:23], 0 offen lds               // 000000003F08: E0511000 8005001A
	s_add_u32 m0, 0x300, s50                                   // 000000003F10: 807C32FF 00000300
	v_mfma_f32_16x16x32_fp8_fp8 v[132:135], a[8:9], v[216:217], v[132:135]// 000000003F18: D3F30084 0E13B108
	v_mfma_f32_16x16x32_fp8_fp8 v[132:135], a[10:11], v[218:219], v[132:135]// 000000003F20: D3F30084 0E13B50A
	buffer_load_dwordx4 a[76:79], v32, s[92:95], 0 offen offset:3072// 000000003F28: E05C1C00 80974C20
	v_mfma_f32_16x16x32_fp8_fp8 v[132:135], a[12:13], v[220:221], v[132:135]// 000000003F30: D3F30084 0E13B90C
	v_mfma_f32_16x16x32_fp8_fp8 v[132:135], a[14:15], v[222:223], v[132:135]// 000000003F38: D3F30084 0E13BD0E
	buffer_load_dword v27, s[20:23], 0 offen lds               // 000000003F40: E0511000 8005001B
	s_add_u32 m0, 0x400, s50                                   // 000000003F48: 807C32FF 00000400
	v_mfma_f32_16x16x32_fp8_fp8 v[136:139], a[16:17], v[192:193], v[136:139]// 000000003F50: D3F30088 0E238110
	v_mfma_f32_16x16x32_fp8_fp8 v[136:139], a[18:19], v[194:195], v[136:139]// 000000003F58: D3F30088 0E238512
	buffer_load_dwordx4 a[80:83], v33, s[92:95], 0 offen       // 000000003F60: E05C1000 80975021
	v_mfma_f32_16x16x32_fp8_fp8 v[136:139], a[20:21], v[196:197], v[136:139]// 000000003F68: D3F30088 0E238914
	v_mfma_f32_16x16x32_fp8_fp8 v[136:139], a[22:23], v[198:199], v[136:139]// 000000003F70: D3F30088 0E238D16
	buffer_load_dword v28, s[20:23], 0 offen lds               // 000000003F78: E0511000 8005001C
	s_add_u32 m0, 0x500, s50                                   // 000000003F80: 807C32FF 00000500
	v_mfma_f32_16x16x32_fp8_fp8 v[136:139], a[24:25], v[200:201], v[136:139]// 000000003F88: D3F30088 0E239118
	v_mfma_f32_16x16x32_fp8_fp8 v[136:139], a[26:27], v[202:203], v[136:139]// 000000003F90: D3F30088 0E23951A
	buffer_load_dwordx4 a[84:87], v33, s[92:95], 0 offen offset:1024// 000000003F98: E05C1400 80975421
	v_mfma_f32_16x16x32_fp8_fp8 v[136:139], a[28:29], v[204:205], v[136:139]// 000000003FA0: D3F30088 0E23991C
	v_mfma_f32_16x16x32_fp8_fp8 v[136:139], a[30:31], v[206:207], v[136:139]// 000000003FA8: D3F30088 0E239D1E
	buffer_load_dword v29, s[20:23], 0 offen lds               // 000000003FB0: E0511000 8005001D
	s_add_u32 m0, 0x600, s50                                   // 000000003FB8: 807C32FF 00000600
	v_mfma_f32_16x16x32_fp8_fp8 v[140:143], a[16:17], v[208:209], v[140:143]// 000000003FC0: D3F3008C 0E33A110
	v_mfma_f32_16x16x32_fp8_fp8 v[140:143], a[18:19], v[210:211], v[140:143]// 000000003FC8: D3F3008C 0E33A512
	buffer_load_dwordx4 a[88:91], v33, s[92:95], 0 offen offset:2048// 000000003FD0: E05C1800 80975821
	v_mfma_f32_16x16x32_fp8_fp8 v[140:143], a[20:21], v[212:213], v[140:143]// 000000003FD8: D3F3008C 0E33A914
	v_mfma_f32_16x16x32_fp8_fp8 v[140:143], a[22:23], v[214:215], v[140:143]// 000000003FE0: D3F3008C 0E33AD16
	buffer_load_dword v30, s[20:23], 0 offen lds               // 000000003FE8: E0511000 8005001E
	s_add_u32 m0, 0x700, s50                                   // 000000003FF0: 807C32FF 00000700
	v_mfma_f32_16x16x32_fp8_fp8 v[140:143], a[24:25], v[216:217], v[140:143]// 000000003FF8: D3F3008C 0E33B118
	v_mfma_f32_16x16x32_fp8_fp8 v[140:143], a[26:27], v[218:219], v[140:143]// 000000004000: D3F3008C 0E33B51A
	buffer_load_dwordx4 a[92:95], v33, s[92:95], 0 offen offset:3072// 000000004008: E05C1C00 80975C21
	v_mfma_f32_16x16x32_fp8_fp8 v[140:143], a[28:29], v[220:221], v[140:143]// 000000004010: D3F3008C 0E33B91C
	v_mfma_f32_16x16x32_fp8_fp8 v[140:143], a[30:31], v[222:223], v[140:143]// 000000004018: D3F3008C 0E33BD1E
	buffer_load_dword v31, s[20:23], 0 offen lds               // 000000004020: E0511000 8005001F
	s_add_u32 m0, 0, s51                                       // 000000004028: 807C3380
	s_waitcnt vmcnt(20)                                        // 00000000402C: BF8C4F74
	v_mfma_f32_16x16x32_fp8_fp8 v[144:147], a[32:33], v[192:193], v[144:147]// 000000004030: D3F30090 0E438120
	v_mfma_f32_16x16x32_fp8_fp8 v[144:147], a[34:35], v[194:195], v[144:147]// 000000004038: D3F30090 0E438522
	buffer_load_dwordx4 a[96:99], v34, s[92:95], 0 offen       // 000000004040: E05C1000 80976022
	v_mfma_f32_16x16x32_fp8_fp8 v[144:147], a[36:37], v[196:197], v[144:147]// 000000004048: D3F30090 0E438924
	v_mfma_f32_16x16x32_fp8_fp8 v[144:147], a[38:39], v[198:199], v[144:147]// 000000004050: D3F30090 0E438D26
	v_mfma_f32_16x16x32_fp8_fp8 v[144:147], a[40:41], v[200:201], v[144:147]// 000000004058: D3F30090 0E439128
	v_mfma_f32_16x16x32_fp8_fp8 v[144:147], a[42:43], v[202:203], v[144:147]// 000000004060: D3F30090 0E43952A
	buffer_load_dwordx4 a[100:103], v34, s[92:95], 0 offen offset:1024// 000000004068: E05C1400 80976422
	v_mfma_f32_16x16x32_fp8_fp8 v[144:147], a[44:45], v[204:205], v[144:147]// 000000004070: D3F30090 0E43992C
	v_mfma_f32_16x16x32_fp8_fp8 v[144:147], a[46:47], v[206:207], v[144:147]// 000000004078: D3F30090 0E439D2E
	v_mfma_f32_16x16x32_fp8_fp8 v[148:151], a[32:33], v[208:209], v[148:151]// 000000004080: D3F30094 0E53A120
	v_mfma_f32_16x16x32_fp8_fp8 v[148:151], a[34:35], v[210:211], v[148:151]// 000000004088: D3F30094 0E53A522
	buffer_load_dwordx4 a[104:107], v34, s[92:95], 0 offen offset:2048// 000000004090: E05C1800 80976822
	v_mfma_f32_16x16x32_fp8_fp8 v[148:151], a[36:37], v[212:213], v[148:151]// 000000004098: D3F30094 0E53A924
	v_mfma_f32_16x16x32_fp8_fp8 v[148:151], a[38:39], v[214:215], v[148:151]// 0000000040A0: D3F30094 0E53AD26
	v_mfma_f32_16x16x32_fp8_fp8 v[148:151], a[40:41], v[216:217], v[148:151]// 0000000040A8: D3F30094 0E53B128
	v_mfma_f32_16x16x32_fp8_fp8 v[148:151], a[42:43], v[218:219], v[148:151]// 0000000040B0: D3F30094 0E53B52A
	buffer_load_dwordx4 a[108:111], v34, s[92:95], 0 offen offset:3072// 0000000040B8: E05C1C00 80976C22
	v_mfma_f32_16x16x32_fp8_fp8 v[148:151], a[44:45], v[220:221], v[148:151]// 0000000040C0: D3F30094 0E53B92C
	v_mfma_f32_16x16x32_fp8_fp8 v[148:151], a[46:47], v[222:223], v[148:151]// 0000000040C8: D3F30094 0E53BD2E
	s_waitcnt vmcnt(20)                                        // 0000000040D0: BF8C4F74
	v_mfma_f32_16x16x32_fp8_fp8 v[152:155], a[48:49], v[192:193], v[152:155]// 0000000040D4: D3F30098 0E638130
	v_mfma_f32_16x16x32_fp8_fp8 v[152:155], a[50:51], v[194:195], v[152:155]// 0000000040DC: D3F30098 0E638532
	buffer_load_dwordx4 a[112:115], v35, s[92:95], 0 offen     // 0000000040E4: E05C1000 80977023
	v_mfma_f32_16x16x32_fp8_fp8 v[152:155], a[52:53], v[196:197], v[152:155]// 0000000040EC: D3F30098 0E638934
	v_mfma_f32_16x16x32_fp8_fp8 v[152:155], a[54:55], v[198:199], v[152:155]// 0000000040F4: D3F30098 0E638D36
	v_mfma_f32_16x16x32_fp8_fp8 v[152:155], a[56:57], v[200:201], v[152:155]// 0000000040FC: D3F30098 0E639138
	v_mfma_f32_16x16x32_fp8_fp8 v[152:155], a[58:59], v[202:203], v[152:155]// 000000004104: D3F30098 0E63953A
	buffer_load_dwordx4 a[116:119], v35, s[92:95], 0 offen offset:1024// 00000000410C: E05C1400 80977423
	v_mfma_f32_16x16x32_fp8_fp8 v[152:155], a[60:61], v[204:205], v[152:155]// 000000004114: D3F30098 0E63993C
	v_mfma_f32_16x16x32_fp8_fp8 v[152:155], a[62:63], v[206:207], v[152:155]// 00000000411C: D3F30098 0E639D3E
	v_mfma_f32_16x16x32_fp8_fp8 v[156:159], a[48:49], v[208:209], v[156:159]// 000000004124: D3F3009C 0E73A130
	v_mfma_f32_16x16x32_fp8_fp8 v[156:159], a[50:51], v[210:211], v[156:159]// 00000000412C: D3F3009C 0E73A532
	buffer_load_dwordx4 a[120:123], v35, s[92:95], 0 offen offset:2048// 000000004134: E05C1800 80977823
	v_mfma_f32_16x16x32_fp8_fp8 v[156:159], a[52:53], v[212:213], v[156:159]// 00000000413C: D3F3009C 0E73A934
	v_mfma_f32_16x16x32_fp8_fp8 v[156:159], a[54:55], v[214:215], v[156:159]// 000000004144: D3F3009C 0E73AD36
	v_mfma_f32_16x16x32_fp8_fp8 v[156:159], a[56:57], v[216:217], v[156:159]// 00000000414C: D3F3009C 0E73B138
	v_mfma_f32_16x16x32_fp8_fp8 v[156:159], a[58:59], v[218:219], v[156:159]// 000000004154: D3F3009C 0E73B53A
	buffer_load_dwordx4 a[124:127], v35, s[92:95], 0 offen offset:3072// 00000000415C: E05C1C00 80977C23
	v_mfma_f32_16x16x32_fp8_fp8 v[156:159], a[60:61], v[220:221], v[156:159]// 000000004164: D3F3009C 0E73B93C
	v_mfma_f32_16x16x32_fp8_fp8 v[156:159], a[62:63], v[222:223], v[156:159]// 00000000416C: D3F3009C 0E73BD3E
	s_waitcnt vmcnt(8)                                         // 000000004174: BF8C0F78
	s_barrier                                                  // 000000004178: BF8A0000
	v_mfma_f32_16x16x32_fp8_fp8 v[64:67], a[64:65], v[192:193], v[64:67]// 00000000417C: D3F30040 0D038140
	v_mfma_f32_16x16x32_fp8_fp8 v[64:67], a[66:67], v[194:195], v[64:67]// 000000004184: D3F30040 0D038542
	buffer_load_dwordx4 a[0:3], v32, s[24:27], 0 offen         // 00000000418C: E05C1000 80860020
	v_mfma_f32_16x16x32_fp8_fp8 v[64:67], a[68:69], v[196:197], v[64:67]// 000000004194: D3F30040 0D038944
	v_mfma_f32_16x16x32_fp8_fp8 v[64:67], a[70:71], v[198:199], v[64:67]// 00000000419C: D3F30040 0D038D46
	v_mfma_f32_16x16x32_fp8_fp8 v[64:67], a[72:73], v[200:201], v[64:67]// 0000000041A4: D3F30040 0D039148
	v_mfma_f32_16x16x32_fp8_fp8 v[64:67], a[74:75], v[202:203], v[64:67]// 0000000041AC: D3F30040 0D03954A
	buffer_load_dwordx4 a[4:7], v32, s[24:27], 0 offen offset:1024// 0000000041B4: E05C1400 80860420
	v_mfma_f32_16x16x32_fp8_fp8 v[64:67], a[76:77], v[204:205], v[64:67]// 0000000041BC: D3F30040 0D03994C
	v_mfma_f32_16x16x32_fp8_fp8 v[64:67], a[78:79], v[206:207], v[64:67]// 0000000041C4: D3F30040 0D039D4E
	v_mfma_f32_16x16x32_fp8_fp8 v[68:71], a[64:65], v[208:209], v[68:71]// 0000000041CC: D3F30044 0D13A140
	v_mfma_f32_16x16x32_fp8_fp8 v[68:71], a[66:67], v[210:211], v[68:71]// 0000000041D4: D3F30044 0D13A542
	buffer_load_dwordx4 a[8:11], v32, s[24:27], 0 offen offset:2048// 0000000041DC: E05C1800 80860820
	v_mfma_f32_16x16x32_fp8_fp8 v[68:71], a[68:69], v[212:213], v[68:71]// 0000000041E4: D3F30044 0D13A944
	v_mfma_f32_16x16x32_fp8_fp8 v[68:71], a[70:71], v[214:215], v[68:71]// 0000000041EC: D3F30044 0D13AD46
	v_mfma_f32_16x16x32_fp8_fp8 v[68:71], a[72:73], v[216:217], v[68:71]// 0000000041F4: D3F30044 0D13B148
	v_mfma_f32_16x16x32_fp8_fp8 v[68:71], a[74:75], v[218:219], v[68:71]// 0000000041FC: D3F30044 0D13B54A
	buffer_load_dwordx4 a[12:15], v32, s[24:27], 0 offen offset:3072// 000000004204: E05C1C00 80860C20
	v_mfma_f32_16x16x32_fp8_fp8 v[68:71], a[76:77], v[220:221], v[68:71]// 00000000420C: D3F30044 0D13B94C
	v_mfma_f32_16x16x32_fp8_fp8 v[68:71], a[78:79], v[222:223], v[68:71]// 000000004214: D3F30044 0D13BD4E
	v_mfma_f32_16x16x32_fp8_fp8 v[72:75], a[80:81], v[192:193], v[72:75]// 00000000421C: D3F30048 0D238150
	v_mfma_f32_16x16x32_fp8_fp8 v[72:75], a[82:83], v[194:195], v[72:75]// 000000004224: D3F30048 0D238552
	buffer_load_dwordx4 a[16:19], v33, s[24:27], 0 offen       // 00000000422C: E05C1000 80861021
	v_mfma_f32_16x16x32_fp8_fp8 v[72:75], a[84:85], v[196:197], v[72:75]// 000000004234: D3F30048 0D238954
	v_mfma_f32_16x16x32_fp8_fp8 v[72:75], a[86:87], v[198:199], v[72:75]// 00000000423C: D3F30048 0D238D56
	v_mfma_f32_16x16x32_fp8_fp8 v[72:75], a[88:89], v[200:201], v[72:75]// 000000004244: D3F30048 0D239158
	v_mfma_f32_16x16x32_fp8_fp8 v[72:75], a[90:91], v[202:203], v[72:75]// 00000000424C: D3F30048 0D23955A
	buffer_load_dwordx4 a[20:23], v33, s[24:27], 0 offen offset:1024// 000000004254: E05C1400 80861421
	v_mfma_f32_16x16x32_fp8_fp8 v[72:75], a[92:93], v[204:205], v[72:75]// 00000000425C: D3F30048 0D23995C
	v_mfma_f32_16x16x32_fp8_fp8 v[72:75], a[94:95], v[206:207], v[72:75]// 000000004264: D3F30048 0D239D5E
	v_mfma_f32_16x16x32_fp8_fp8 v[76:79], a[80:81], v[208:209], v[76:79]// 00000000426C: D3F3004C 0D33A150
	v_mfma_f32_16x16x32_fp8_fp8 v[76:79], a[82:83], v[210:211], v[76:79]// 000000004274: D3F3004C 0D33A552
	buffer_load_dwordx4 a[24:27], v33, s[24:27], 0 offen offset:2048// 00000000427C: E05C1800 80861821
	v_mfma_f32_16x16x32_fp8_fp8 v[76:79], a[84:85], v[212:213], v[76:79]// 000000004284: D3F3004C 0D33A954
	v_mfma_f32_16x16x32_fp8_fp8 v[76:79], a[86:87], v[214:215], v[76:79]// 00000000428C: D3F3004C 0D33AD56
	v_mfma_f32_16x16x32_fp8_fp8 v[76:79], a[88:89], v[216:217], v[76:79]// 000000004294: D3F3004C 0D33B158
	v_mfma_f32_16x16x32_fp8_fp8 v[76:79], a[90:91], v[218:219], v[76:79]// 00000000429C: D3F3004C 0D33B55A
	buffer_load_dwordx4 a[28:31], v33, s[24:27], 0 offen offset:3072// 0000000042A4: E05C1C00 80861C21
	v_mfma_f32_16x16x32_fp8_fp8 v[76:79], a[92:93], v[220:221], v[76:79]// 0000000042AC: D3F3004C 0D33B95C
	v_mfma_f32_16x16x32_fp8_fp8 v[76:79], a[94:95], v[222:223], v[76:79]// 0000000042B4: D3F3004C 0D33BD5E
	s_waitcnt vmcnt(12)                                        // 0000000042BC: BF8C0F7C
	v_mfma_f32_16x16x32_fp8_fp8 v[80:83], a[96:97], v[192:193], v[80:83]// 0000000042C0: D3F30050 0D438160
	v_mfma_f32_16x16x32_fp8_fp8 v[80:83], a[98:99], v[194:195], v[80:83]// 0000000042C8: D3F30050 0D438562
	buffer_load_dwordx4 a[32:35], v34, s[24:27], 0 offen       // 0000000042D0: E05C1000 80862022
	v_mfma_f32_16x16x32_fp8_fp8 v[80:83], a[100:101], v[196:197], v[80:83]// 0000000042D8: D3F30050 0D438964
	v_mfma_f32_16x16x32_fp8_fp8 v[80:83], a[102:103], v[198:199], v[80:83]// 0000000042E0: D3F30050 0D438D66
	ds_read_b128 v[160:163], v2                                // 0000000042E8: D9FE0000 A0000002
	v_mfma_f32_16x16x32_fp8_fp8 v[80:83], a[104:105], v[200:201], v[80:83]// 0000000042F0: D3F30050 0D439168
	v_mfma_f32_16x16x32_fp8_fp8 v[80:83], a[106:107], v[202:203], v[80:83]// 0000000042F8: D3F30050 0D43956A
	buffer_load_dwordx4 a[36:39], v34, s[24:27], 0 offen offset:1024// 000000004300: E05C1400 80862422
	v_mfma_f32_16x16x32_fp8_fp8 v[80:83], a[108:109], v[204:205], v[80:83]// 000000004308: D3F30050 0D43996C
	v_mfma_f32_16x16x32_fp8_fp8 v[80:83], a[110:111], v[206:207], v[80:83]// 000000004310: D3F30050 0D439D6E
	ds_read_b128 v[164:167], v2 offset:64                      // 000000004318: D9FE0040 A4000002
	v_mfma_f32_16x16x32_fp8_fp8 v[84:87], a[96:97], v[208:209], v[84:87]// 000000004320: D3F30054 0D53A160
	v_mfma_f32_16x16x32_fp8_fp8 v[84:87], a[98:99], v[210:211], v[84:87]// 000000004328: D3F30054 0D53A562
	buffer_load_dwordx4 a[40:43], v34, s[24:27], 0 offen offset:2048// 000000004330: E05C1800 80862822
	v_mfma_f32_16x16x32_fp8_fp8 v[84:87], a[100:101], v[212:213], v[84:87]// 000000004338: D3F30054 0D53A964
	v_mfma_f32_16x16x32_fp8_fp8 v[84:87], a[102:103], v[214:215], v[84:87]// 000000004340: D3F30054 0D53AD66
	ds_read_b128 v[168:171], v2 offset:128                     // 000000004348: D9FE0080 A8000002
	v_mfma_f32_16x16x32_fp8_fp8 v[84:87], a[104:105], v[216:217], v[84:87]// 000000004350: D3F30054 0D53B168
	v_mfma_f32_16x16x32_fp8_fp8 v[84:87], a[106:107], v[218:219], v[84:87]// 000000004358: D3F30054 0D53B56A
	buffer_load_dwordx4 a[44:47], v34, s[24:27], 0 offen offset:3072// 000000004360: E05C1C00 80862C22
	v_mfma_f32_16x16x32_fp8_fp8 v[84:87], a[108:109], v[220:221], v[84:87]// 000000004368: D3F30054 0D53B96C
	v_mfma_f32_16x16x32_fp8_fp8 v[84:87], a[110:111], v[222:223], v[84:87]// 000000004370: D3F30054 0D53BD6E
	ds_read_b128 v[172:175], v2 offset:192                     // 000000004378: D9FE00C0 AC000002
	s_waitcnt vmcnt(12)                                        // 000000004380: BF8C0F7C
	v_mfma_f32_16x16x32_fp8_fp8 v[88:91], a[112:113], v[192:193], v[88:91]// 000000004384: D3F30058 0D638170
	v_mfma_f32_16x16x32_fp8_fp8 v[88:91], a[114:115], v[194:195], v[88:91]// 00000000438C: D3F30058 0D638572
	buffer_load_dwordx4 a[48:51], v35, s[24:27], 0 offen       // 000000004394: E05C1000 80863023
	v_mfma_f32_16x16x32_fp8_fp8 v[88:91], a[116:117], v[196:197], v[88:91]// 00000000439C: D3F30058 0D638974
	v_mfma_f32_16x16x32_fp8_fp8 v[88:91], a[118:119], v[198:199], v[88:91]// 0000000043A4: D3F30058 0D638D76
	ds_read_b128 v[176:179], v2 offset:1024                    // 0000000043AC: D9FE0400 B0000002
	v_mfma_f32_16x16x32_fp8_fp8 v[88:91], a[120:121], v[200:201], v[88:91]// 0000000043B4: D3F30058 0D639178
	v_mfma_f32_16x16x32_fp8_fp8 v[88:91], a[122:123], v[202:203], v[88:91]// 0000000043BC: D3F30058 0D63957A
	buffer_load_dwordx4 a[52:55], v35, s[24:27], 0 offen offset:1024// 0000000043C4: E05C1400 80863423
	v_mfma_f32_16x16x32_fp8_fp8 v[88:91], a[124:125], v[204:205], v[88:91]// 0000000043CC: D3F30058 0D63997C
	v_mfma_f32_16x16x32_fp8_fp8 v[88:91], a[126:127], v[206:207], v[88:91]// 0000000043D4: D3F30058 0D639D7E
	ds_read_b128 v[180:183], v2 offset:1088                    // 0000000043DC: D9FE0440 B4000002
	v_mfma_f32_16x16x32_fp8_fp8 v[92:95], a[112:113], v[208:209], v[92:95]// 0000000043E4: D3F3005C 0D73A170
	v_mfma_f32_16x16x32_fp8_fp8 v[92:95], a[114:115], v[210:211], v[92:95]// 0000000043EC: D3F3005C 0D73A572
	buffer_load_dwordx4 a[56:59], v35, s[24:27], 0 offen offset:2048// 0000000043F4: E05C1800 80863823
	v_mfma_f32_16x16x32_fp8_fp8 v[92:95], a[116:117], v[212:213], v[92:95]// 0000000043FC: D3F3005C 0D73A974
	v_mfma_f32_16x16x32_fp8_fp8 v[92:95], a[118:119], v[214:215], v[92:95]// 000000004404: D3F3005C 0D73AD76
	ds_read_b128 v[184:187], v2 offset:1152                    // 00000000440C: D9FE0480 B8000002
	v_mfma_f32_16x16x32_fp8_fp8 v[92:95], a[120:121], v[216:217], v[92:95]// 000000004414: D3F3005C 0D73B178
	v_mfma_f32_16x16x32_fp8_fp8 v[92:95], a[122:123], v[218:219], v[92:95]// 00000000441C: D3F3005C 0D73B57A
	buffer_load_dwordx4 a[60:63], v35, s[24:27], 0 offen offset:3072// 000000004424: E05C1C00 80863C23
	v_mfma_f32_16x16x32_fp8_fp8 v[92:95], a[124:125], v[220:221], v[92:95]// 00000000442C: D3F3005C 0D73B97C
	v_mfma_f32_16x16x32_fp8_fp8 v[92:95], a[126:127], v[222:223], v[92:95]// 000000004434: D3F3005C 0D73BD7E
	ds_read_b128 v[188:191], v2 offset:1216                    // 00000000443C: D9FE04C0 BC000002
	s_add_u32 s60, 0x200, s80                                  // 000000004444: 803C50FF 00000200
	s_cmp_lt_u32 s60, s81                                      // 00000000444C: BF0A513C
	s_cselect_b32 s57, s57, 0                                  // 000000004450: 85398039
	s_add_u32 s60, 0x200, s80                                  // 000000004454: 803C50FF 00000200
	s_cmp_lt_u32 s60, s81                                      // 00000000445C: BF0A513C
	s_cselect_b32 s58, s58, 0                                  // 000000004460: 853A803A
	s_add_u32 s20, s57, s20                                    // 000000004464: 80141439
	s_addc_u32 s21, 0, s21                                     // 000000004468: 82151580
	s_add_u32 s24, s58, s24                                    // 00000000446C: 8018183A
	s_addc_u32 s25, 0, s25                                     // 000000004470: 82191980
	s_add_u32 s92, s90, s92                                    // 000000004474: 805C5C5A
	s_addc_u32 s93, 0, s93                                     // 000000004478: 825D5D80
	s_addk_i32 s80, 0x100                                      // 00000000447C: B7500100
	s_cmp_lt_i32 s80, s81                                      // 000000004480: BF045150
	s_cbranch_scc0 label_05A3                                  // 000000004484: BF840001
	s_branch label_0292                                        // 000000004488: BF82FCEF

000000000000448c <label_05A3>:
	s_mov_b32 s36, -1                                          // 00000000448C: BEA400C1
	s_mov_b32 s37, -1                                          // 000000004490: BEA500C1
	s_mov_b64 s[60:61], 0                                      // 000000004494: BEBC0180
	s_cmp_lt_u32 s82, s66                                      // 000000004498: BF0A4252
	s_cselect_b64 s[20:21], s[36:37], s[60:61]                 // 00000000449C: 85943C24
	s_cmp_lt_u32 s83, s66                                      // 0000000044A0: BF0A4253
	s_cselect_b64 s[22:23], s[36:37], s[60:61]                 // 0000000044A4: 85963C24
	s_cmp_lt_u32 s84, s66                                      // 0000000044A8: BF0A4254
	s_cselect_b64 s[24:25], s[36:37], s[60:61]                 // 0000000044AC: 85983C24
	s_cmp_lt_u32 s85, s66                                      // 0000000044B0: BF0A4255
	s_cselect_b64 s[26:27], s[36:37], s[60:61]                 // 0000000044B4: 859A3C24
	s_cmp_lt_u32 s86, s66                                      // 0000000044B8: BF0A4256
	s_cselect_b64 s[28:29], s[36:37], s[60:61]                 // 0000000044BC: 859C3C24
	s_cmp_lt_u32 s87, s66                                      // 0000000044C0: BF0A4257
	s_cselect_b64 s[30:31], s[36:37], s[60:61]                 // 0000000044C4: 859E3C24
	s_cmp_lt_u32 s88, s66                                      // 0000000044C8: BF0A4258
	s_cselect_b64 s[32:33], s[36:37], s[60:61]                 // 0000000044CC: 85A03C24
	s_cmp_lt_u32 s89, s66                                      // 0000000044D0: BF0A4259
	s_cselect_b64 s[34:35], s[36:37], s[60:61]                 // 0000000044D4: 85A23C24
	v_mul_f32_e32 v128, v13, v128                              // 0000000044D8: 0B01010D
	v_mul_f32_e32 v129, v13, v129                              // 0000000044DC: 0B03030D
	v_mul_f32_e32 v130, v13, v130                              // 0000000044E0: 0B05050D
	v_mul_f32_e32 v131, v13, v131                              // 0000000044E4: 0B07070D
	v_mul_f32_dpp v128, v15, v128 row_newbcast:0 row_mask:0xf bank_mask:0xf// 0000000044E8: 0B0100FA FF01500F
	v_mul_f32_dpp v129, v15, v129 row_newbcast:1 row_mask:0xf bank_mask:0xf// 0000000044F0: 0B0302FA FF01510F
	v_mul_f32_dpp v130, v15, v130 row_newbcast:2 row_mask:0xf bank_mask:0xf// 0000000044F8: 0B0504FA FF01520F
	v_mul_f32_dpp v131, v15, v131 row_newbcast:3 row_mask:0xf bank_mask:0xf// 000000004500: 0B0706FA FF01530F
	v_mul_f32_e32 v132, v14, v132                              // 000000004508: 0B09090E
	v_mul_f32_e32 v133, v14, v133                              // 00000000450C: 0B0B0B0E
	v_mul_f32_e32 v134, v14, v134                              // 000000004510: 0B0D0D0E
	v_mul_f32_e32 v135, v14, v135                              // 000000004514: 0B0F0F0E
	v_mul_f32_dpp v132, v15, v132 row_newbcast:0 row_mask:0xf bank_mask:0xf// 000000004518: 0B0908FA FF01500F
	v_mul_f32_dpp v133, v15, v133 row_newbcast:1 row_mask:0xf bank_mask:0xf// 000000004520: 0B0B0AFA FF01510F
	v_mul_f32_dpp v134, v15, v134 row_newbcast:2 row_mask:0xf bank_mask:0xf// 000000004528: 0B0D0CFA FF01520F
	v_mul_f32_dpp v135, v15, v135 row_newbcast:3 row_mask:0xf bank_mask:0xf// 000000004530: 0B0F0EFA FF01530F
	v_mul_f32_e32 v136, v13, v136                              // 000000004538: 0B11110D
	v_mul_f32_e32 v137, v13, v137                              // 00000000453C: 0B13130D
	v_mul_f32_e32 v138, v13, v138                              // 000000004540: 0B15150D
	v_mul_f32_e32 v139, v13, v139                              // 000000004544: 0B17170D
	v_mul_f32_dpp v136, v15, v136 row_newbcast:4 row_mask:0xf bank_mask:0xf// 000000004548: 0B1110FA FF01540F
	v_mul_f32_dpp v137, v15, v137 row_newbcast:5 row_mask:0xf bank_mask:0xf// 000000004550: 0B1312FA FF01550F
	v_mul_f32_dpp v138, v15, v138 row_newbcast:6 row_mask:0xf bank_mask:0xf// 000000004558: 0B1514FA FF01560F
	v_mul_f32_dpp v139, v15, v139 row_newbcast:7 row_mask:0xf bank_mask:0xf// 000000004560: 0B1716FA FF01570F
	v_mul_f32_e32 v140, v14, v140                              // 000000004568: 0B19190E
	v_mul_f32_e32 v141, v14, v141                              // 00000000456C: 0B1B1B0E
	v_mul_f32_e32 v142, v14, v142                              // 000000004570: 0B1D1D0E
	v_mul_f32_e32 v143, v14, v143                              // 000000004574: 0B1F1F0E
	v_mul_f32_dpp v140, v15, v140 row_newbcast:4 row_mask:0xf bank_mask:0xf// 000000004578: 0B1918FA FF01540F
	v_mul_f32_dpp v141, v15, v141 row_newbcast:5 row_mask:0xf bank_mask:0xf// 000000004580: 0B1B1AFA FF01550F
	v_mul_f32_dpp v142, v15, v142 row_newbcast:6 row_mask:0xf bank_mask:0xf// 000000004588: 0B1D1CFA FF01560F
	v_mul_f32_dpp v143, v15, v143 row_newbcast:7 row_mask:0xf bank_mask:0xf// 000000004590: 0B1F1EFA FF01570F
	v_mul_f32_e32 v144, v13, v144                              // 000000004598: 0B21210D
	v_mul_f32_e32 v145, v13, v145                              // 00000000459C: 0B23230D
	v_mul_f32_e32 v146, v13, v146                              // 0000000045A0: 0B25250D
	v_mul_f32_e32 v147, v13, v147                              // 0000000045A4: 0B27270D
	v_mul_f32_dpp v144, v15, v144 row_newbcast:8 row_mask:0xf bank_mask:0xf// 0000000045A8: 0B2120FA FF01580F
	v_mul_f32_dpp v145, v15, v145 row_newbcast:9 row_mask:0xf bank_mask:0xf// 0000000045B0: 0B2322FA FF01590F
	v_mul_f32_dpp v146, v15, v146 row_newbcast:10 row_mask:0xf bank_mask:0xf// 0000000045B8: 0B2524FA FF015A0F
	v_mul_f32_dpp v147, v15, v147 row_newbcast:11 row_mask:0xf bank_mask:0xf// 0000000045C0: 0B2726FA FF015B0F
	v_mul_f32_e32 v148, v14, v148                              // 0000000045C8: 0B29290E
	v_mul_f32_e32 v149, v14, v149                              // 0000000045CC: 0B2B2B0E
	v_mul_f32_e32 v150, v14, v150                              // 0000000045D0: 0B2D2D0E
	v_mul_f32_e32 v151, v14, v151                              // 0000000045D4: 0B2F2F0E
	v_mul_f32_dpp v148, v15, v148 row_newbcast:8 row_mask:0xf bank_mask:0xf// 0000000045D8: 0B2928FA FF01580F
	v_mul_f32_dpp v149, v15, v149 row_newbcast:9 row_mask:0xf bank_mask:0xf// 0000000045E0: 0B2B2AFA FF01590F
	v_mul_f32_dpp v150, v15, v150 row_newbcast:10 row_mask:0xf bank_mask:0xf// 0000000045E8: 0B2D2CFA FF015A0F
	v_mul_f32_dpp v151, v15, v151 row_newbcast:11 row_mask:0xf bank_mask:0xf// 0000000045F0: 0B2F2EFA FF015B0F
	v_mul_f32_e32 v152, v13, v152                              // 0000000045F8: 0B31310D
	v_mul_f32_e32 v153, v13, v153                              // 0000000045FC: 0B33330D
	v_mul_f32_e32 v154, v13, v154                              // 000000004600: 0B35350D
	v_mul_f32_e32 v155, v13, v155                              // 000000004604: 0B37370D
	v_mul_f32_dpp v152, v15, v152 row_newbcast:12 row_mask:0xf bank_mask:0xf// 000000004608: 0B3130FA FF015C0F
	v_mul_f32_dpp v153, v15, v153 row_newbcast:13 row_mask:0xf bank_mask:0xf// 000000004610: 0B3332FA FF015D0F
	v_mul_f32_dpp v154, v15, v154 row_newbcast:14 row_mask:0xf bank_mask:0xf// 000000004618: 0B3534FA FF015E0F
	v_mul_f32_dpp v155, v15, v155 row_newbcast:15 row_mask:0xf bank_mask:0xf// 000000004620: 0B3736FA FF015F0F
	v_mul_f32_e32 v156, v14, v156                              // 000000004628: 0B39390E
	v_mul_f32_e32 v157, v14, v157                              // 00000000462C: 0B3B3B0E
	v_mul_f32_e32 v158, v14, v158                              // 000000004630: 0B3D3D0E
	v_mul_f32_e32 v159, v14, v159                              // 000000004634: 0B3F3F0E
	v_mul_f32_dpp v156, v15, v156 row_newbcast:12 row_mask:0xf bank_mask:0xf// 000000004638: 0B3938FA FF015C0F
	v_mul_f32_dpp v157, v15, v157 row_newbcast:13 row_mask:0xf bank_mask:0xf// 000000004640: 0B3B3AFA FF015D0F
	v_mul_f32_dpp v158, v15, v158 row_newbcast:14 row_mask:0xf bank_mask:0xf// 000000004648: 0B3D3CFA FF015E0F
	v_mul_f32_dpp v159, v15, v159 row_newbcast:15 row_mask:0xf bank_mask:0xf// 000000004650: 0B3F3EFA FF015F0F
	v_mul_f32_e32 v64, v13, v64                                // 000000004658: 0A80810D
	v_mul_f32_e32 v65, v13, v65                                // 00000000465C: 0A82830D
	v_mul_f32_e32 v66, v13, v66                                // 000000004660: 0A84850D
	v_mul_f32_e32 v67, v13, v67                                // 000000004664: 0A86870D
	v_mul_f32_dpp v64, v44, v64 row_newbcast:0 row_mask:0xf bank_mask:0xf// 000000004668: 0A8080FA FF01502C
	v_mul_f32_dpp v65, v44, v65 row_newbcast:1 row_mask:0xf bank_mask:0xf// 000000004670: 0A8282FA FF01512C
	v_mul_f32_dpp v66, v44, v66 row_newbcast:2 row_mask:0xf bank_mask:0xf// 000000004678: 0A8484FA FF01522C
	v_mul_f32_dpp v67, v44, v67 row_newbcast:3 row_mask:0xf bank_mask:0xf// 000000004680: 0A8686FA FF01532C
	v_mul_f32_e32 v68, v14, v68                                // 000000004688: 0A88890E
	v_mul_f32_e32 v69, v14, v69                                // 00000000468C: 0A8A8B0E
	v_mul_f32_e32 v70, v14, v70                                // 000000004690: 0A8C8D0E
	v_mul_f32_e32 v71, v14, v71                                // 000000004694: 0A8E8F0E
	v_mul_f32_dpp v68, v44, v68 row_newbcast:0 row_mask:0xf bank_mask:0xf// 000000004698: 0A8888FA FF01502C
	v_mul_f32_dpp v69, v44, v69 row_newbcast:1 row_mask:0xf bank_mask:0xf// 0000000046A0: 0A8A8AFA FF01512C
	v_mul_f32_dpp v70, v44, v70 row_newbcast:2 row_mask:0xf bank_mask:0xf// 0000000046A8: 0A8C8CFA FF01522C
	v_mul_f32_dpp v71, v44, v71 row_newbcast:3 row_mask:0xf bank_mask:0xf// 0000000046B0: 0A8E8EFA FF01532C
	v_mul_f32_e32 v72, v13, v72                                // 0000000046B8: 0A90910D
	v_mul_f32_e32 v73, v13, v73                                // 0000000046BC: 0A92930D
	v_mul_f32_e32 v74, v13, v74                                // 0000000046C0: 0A94950D
	v_mul_f32_e32 v75, v13, v75                                // 0000000046C4: 0A96970D
	v_mul_f32_dpp v72, v44, v72 row_newbcast:4 row_mask:0xf bank_mask:0xf// 0000000046C8: 0A9090FA FF01542C
	v_mul_f32_dpp v73, v44, v73 row_newbcast:5 row_mask:0xf bank_mask:0xf// 0000000046D0: 0A9292FA FF01552C
	v_mul_f32_dpp v74, v44, v74 row_newbcast:6 row_mask:0xf bank_mask:0xf// 0000000046D8: 0A9494FA FF01562C
	v_mul_f32_dpp v75, v44, v75 row_newbcast:7 row_mask:0xf bank_mask:0xf// 0000000046E0: 0A9696FA FF01572C
	v_mul_f32_e32 v76, v14, v76                                // 0000000046E8: 0A98990E
	v_mul_f32_e32 v77, v14, v77                                // 0000000046EC: 0A9A9B0E
	v_mul_f32_e32 v78, v14, v78                                // 0000000046F0: 0A9C9D0E
	v_mul_f32_e32 v79, v14, v79                                // 0000000046F4: 0A9E9F0E
	v_mul_f32_dpp v76, v44, v76 row_newbcast:4 row_mask:0xf bank_mask:0xf// 0000000046F8: 0A9898FA FF01542C
	v_mul_f32_dpp v77, v44, v77 row_newbcast:5 row_mask:0xf bank_mask:0xf// 000000004700: 0A9A9AFA FF01552C
	v_mul_f32_dpp v78, v44, v78 row_newbcast:6 row_mask:0xf bank_mask:0xf// 000000004708: 0A9C9CFA FF01562C
	v_mul_f32_dpp v79, v44, v79 row_newbcast:7 row_mask:0xf bank_mask:0xf// 000000004710: 0A9E9EFA FF01572C
	v_mul_f32_e32 v80, v13, v80                                // 000000004718: 0AA0A10D
	v_mul_f32_e32 v81, v13, v81                                // 00000000471C: 0AA2A30D
	v_mul_f32_e32 v82, v13, v82                                // 000000004720: 0AA4A50D
	v_mul_f32_e32 v83, v13, v83                                // 000000004724: 0AA6A70D
	v_mul_f32_dpp v80, v44, v80 row_newbcast:8 row_mask:0xf bank_mask:0xf// 000000004728: 0AA0A0FA FF01582C
	v_mul_f32_dpp v81, v44, v81 row_newbcast:9 row_mask:0xf bank_mask:0xf// 000000004730: 0AA2A2FA FF01592C
	v_mul_f32_dpp v82, v44, v82 row_newbcast:10 row_mask:0xf bank_mask:0xf// 000000004738: 0AA4A4FA FF015A2C
	v_mul_f32_dpp v83, v44, v83 row_newbcast:11 row_mask:0xf bank_mask:0xf// 000000004740: 0AA6A6FA FF015B2C
	v_mul_f32_e32 v84, v14, v84                                // 000000004748: 0AA8A90E
	v_mul_f32_e32 v85, v14, v85                                // 00000000474C: 0AAAAB0E
	v_mul_f32_e32 v86, v14, v86                                // 000000004750: 0AACAD0E
	v_mul_f32_e32 v87, v14, v87                                // 000000004754: 0AAEAF0E
	v_mul_f32_dpp v84, v44, v84 row_newbcast:8 row_mask:0xf bank_mask:0xf// 000000004758: 0AA8A8FA FF01582C
	v_mul_f32_dpp v85, v44, v85 row_newbcast:9 row_mask:0xf bank_mask:0xf// 000000004760: 0AAAAAFA FF01592C
	v_mul_f32_dpp v86, v44, v86 row_newbcast:10 row_mask:0xf bank_mask:0xf// 000000004768: 0AACACFA FF015A2C
	v_mul_f32_dpp v87, v44, v87 row_newbcast:11 row_mask:0xf bank_mask:0xf// 000000004770: 0AAEAEFA FF015B2C
	v_mul_f32_e32 v88, v13, v88                                // 000000004778: 0AB0B10D
	v_mul_f32_e32 v89, v13, v89                                // 00000000477C: 0AB2B30D
	v_mul_f32_e32 v90, v13, v90                                // 000000004780: 0AB4B50D
	v_mul_f32_e32 v91, v13, v91                                // 000000004784: 0AB6B70D
	v_mul_f32_dpp v88, v44, v88 row_newbcast:12 row_mask:0xf bank_mask:0xf// 000000004788: 0AB0B0FA FF015C2C
	v_mul_f32_dpp v89, v44, v89 row_newbcast:13 row_mask:0xf bank_mask:0xf// 000000004790: 0AB2B2FA FF015D2C
	v_mul_f32_dpp v90, v44, v90 row_newbcast:14 row_mask:0xf bank_mask:0xf// 000000004798: 0AB4B4FA FF015E2C
	v_mul_f32_dpp v91, v44, v91 row_newbcast:15 row_mask:0xf bank_mask:0xf// 0000000047A0: 0AB6B6FA FF015F2C
	v_mul_f32_e32 v92, v14, v92                                // 0000000047A8: 0AB8B90E
	v_mul_f32_e32 v93, v14, v93                                // 0000000047AC: 0ABABB0E
	v_mul_f32_e32 v94, v14, v94                                // 0000000047B0: 0ABCBD0E
	v_mul_f32_e32 v95, v14, v95                                // 0000000047B4: 0ABEBF0E
	v_mul_f32_dpp v92, v44, v92 row_newbcast:12 row_mask:0xf bank_mask:0xf// 0000000047B8: 0AB8B8FA FF015C2C
	v_mul_f32_dpp v93, v44, v93 row_newbcast:13 row_mask:0xf bank_mask:0xf// 0000000047C0: 0ABABAFA FF015D2C
	v_mul_f32_dpp v94, v44, v94 row_newbcast:14 row_mask:0xf bank_mask:0xf// 0000000047C8: 0ABCBCFA FF015E2C
	v_mul_f32_dpp v95, v44, v95 row_newbcast:15 row_mask:0xf bank_mask:0xf// 0000000047D0: 0ABEBEFA FF015F2C
	s_waitcnt vmcnt(12)                                        // 0000000047D8: BF8C0F7C
	buffer_load_dwordx4 a[0:3], v36, s[12:15], 0 offen         // 0000000047DC: E05C1000 80830024
	v_mul_f32_e32 v46, v128, v128                              // 0000000047E4: 0A5D0180
	v_mul_f32_e32 v47, v129, v129                              // 0000000047E8: 0A5F0381
	v_mul_f32_e32 v48, v130, v130                              // 0000000047EC: 0A610582
	v_mul_f32_e32 v49, v131, v131                              // 0000000047F0: 0A630783
	v_fma_f32 v46, v46, s77, v1                                // 0000000047F4: D1CB002E 04049B2E
	v_fma_f32 v47, v47, s77, v1                                // 0000000047FC: D1CB002F 04049B2F
	v_fma_f32 v48, v48, s77, v1                                // 000000004804: D1CB0030 04049B30
	v_fma_f32 v49, v49, s77, v1                                // 00000000480C: D1CB0031 04049B31
	v_mul_f32_e32 v46, v46, v128                               // 000000004814: 0A5D012E
	v_mul_f32_e32 v47, v47, v129                               // 000000004818: 0A5F032F
	v_mul_f32_e32 v48, v48, v130                               // 00000000481C: 0A610530
	v_mul_f32_e32 v49, v49, v131                               // 000000004820: 0A630731
	v_mul_f32_e64 v46, v46, s6                                 // 000000004824: D105002E 00000D2E
	v_mul_f32_e64 v47, v47, s6                                 // 00000000482C: D105002F 00000D2F
	v_mul_f32_e64 v48, v48, s6                                 // 000000004834: D1050030 00000D30
	v_mul_f32_e64 v49, v49, s6                                 // 00000000483C: D1050031 00000D31
	v_exp_f32_e32 v46, v46                                     // 000000004844: 7E5C412E
	v_exp_f32_e32 v47, v47                                     // 000000004848: 7E5E412F
	v_exp_f32_e32 v48, v48                                     // 00000000484C: 7E604130
	v_exp_f32_e32 v49, v49                                     // 000000004850: 7E624131
	buffer_load_dwordx4 a[4:7], v37, s[12:15], 0 offen         // 000000004854: E05C1000 80830425
	v_add_f32_e64 v46, v46, 1.0                                // 00000000485C: D101002E 0001E52E
	v_add_f32_e64 v47, v47, 1.0                                // 000000004864: D101002F 0001E52F
	v_add_f32_e64 v48, v48, 1.0                                // 00000000486C: D1010030 0001E530
	v_add_f32_e64 v49, v49, 1.0                                // 000000004874: D1010031 0001E531
	v_rcp_f32_e32 v46, v46                                     // 00000000487C: 7E5C452E
	v_rcp_f32_e32 v47, v47                                     // 000000004880: 7E5E452F
	v_rcp_f32_e32 v48, v48                                     // 000000004884: 7E604530
	v_rcp_f32_e32 v49, v49                                     // 000000004888: 7E624531
	v_mul_f32_e32 v128, v128, v46                              // 00000000488C: 0B005D80
	v_mul_f32_e32 v129, v129, v47                              // 000000004890: 0B025F81
	v_mul_f32_e32 v130, v130, v48                              // 000000004894: 0B046182
	v_mul_f32_e32 v131, v131, v49                              // 000000004898: 0B066383
	v_mul_f32_e32 v128, v128, v64                              // 00000000489C: 0B008180
	v_mul_f32_e32 v129, v129, v65                              // 0000000048A0: 0B028381
	v_mul_f32_e32 v130, v130, v66                              // 0000000048A4: 0B048582
	v_mul_f32_e32 v131, v131, v67                              // 0000000048A8: 0B068783
	buffer_load_dwordx4 a[8:11], v38, s[12:15], 0 offen        // 0000000048AC: E05C1000 80830826
	v_mul_f32_e32 v46, v132, v132                              // 0000000048B4: 0A5D0984
	v_mul_f32_e32 v47, v133, v133                              // 0000000048B8: 0A5F0B85
	v_mul_f32_e32 v48, v134, v134                              // 0000000048BC: 0A610D86
	v_mul_f32_e32 v49, v135, v135                              // 0000000048C0: 0A630F87
	v_fma_f32 v46, v46, s77, v1                                // 0000000048C4: D1CB002E 04049B2E
	v_fma_f32 v47, v47, s77, v1                                // 0000000048CC: D1CB002F 04049B2F
	v_fma_f32 v48, v48, s77, v1                                // 0000000048D4: D1CB0030 04049B30
	v_fma_f32 v49, v49, s77, v1                                // 0000000048DC: D1CB0031 04049B31
	v_mul_f32_e32 v46, v46, v132                               // 0000000048E4: 0A5D092E
	v_mul_f32_e32 v47, v47, v133                               // 0000000048E8: 0A5F0B2F
	v_mul_f32_e32 v48, v48, v134                               // 0000000048EC: 0A610D30
	v_mul_f32_e32 v49, v49, v135                               // 0000000048F0: 0A630F31
	v_mul_f32_e64 v46, v46, s6                                 // 0000000048F4: D105002E 00000D2E
	v_mul_f32_e64 v47, v47, s6                                 // 0000000048FC: D105002F 00000D2F
	v_mul_f32_e64 v48, v48, s6                                 // 000000004904: D1050030 00000D30
	v_mul_f32_e64 v49, v49, s6                                 // 00000000490C: D1050031 00000D31
	v_exp_f32_e32 v46, v46                                     // 000000004914: 7E5C412E
	v_exp_f32_e32 v47, v47                                     // 000000004918: 7E5E412F
	v_exp_f32_e32 v48, v48                                     // 00000000491C: 7E604130
	v_exp_f32_e32 v49, v49                                     // 000000004920: 7E624131
	buffer_load_dwordx4 a[12:15], v39, s[12:15], 0 offen       // 000000004924: E05C1000 80830C27
	s_add_u32 s12, s78, s12                                    // 00000000492C: 800C0C4E
	s_addc_u32 s13, 0, s13                                     // 000000004930: 820D0D80
	v_add_f32_e64 v46, v46, 1.0                                // 000000004934: D101002E 0001E52E
	v_add_f32_e64 v47, v47, 1.0                                // 00000000493C: D101002F 0001E52F
	v_add_f32_e64 v48, v48, 1.0                                // 000000004944: D1010030 0001E530
	v_add_f32_e64 v49, v49, 1.0                                // 00000000494C: D1010031 0001E531
	v_rcp_f32_e32 v46, v46                                     // 000000004954: 7E5C452E
	v_rcp_f32_e32 v47, v47                                     // 000000004958: 7E5E452F
	v_rcp_f32_e32 v48, v48                                     // 00000000495C: 7E604530
	v_rcp_f32_e32 v49, v49                                     // 000000004960: 7E624531
	v_mul_f32_e32 v132, v132, v46                              // 000000004964: 0B085D84
	v_mul_f32_e32 v133, v133, v47                              // 000000004968: 0B0A5F85
	v_mul_f32_e32 v134, v134, v48                              // 00000000496C: 0B0C6186
	v_mul_f32_e32 v135, v135, v49                              // 000000004970: 0B0E6387
	v_mul_f32_e32 v132, v132, v68                              // 000000004974: 0B088984
	v_mul_f32_e32 v133, v133, v69                              // 000000004978: 0B0A8B85
	v_mul_f32_e32 v134, v134, v70                              // 00000000497C: 0B0C8D86
	v_mul_f32_e32 v135, v135, v71                              // 000000004980: 0B0E8F87
	s_waitcnt vmcnt(12)                                        // 000000004984: BF8C0F7C
	buffer_load_dwordx4 a[16:19], v36, s[12:15], 0 offen       // 000000004988: E05C1000 80831024
	v_mul_f32_e32 v46, v136, v136                              // 000000004990: 0A5D1188
	v_mul_f32_e32 v47, v137, v137                              // 000000004994: 0A5F1389
	v_mul_f32_e32 v48, v138, v138                              // 000000004998: 0A61158A
	v_mul_f32_e32 v49, v139, v139                              // 00000000499C: 0A63178B
	v_fma_f32 v46, v46, s77, v1                                // 0000000049A0: D1CB002E 04049B2E
	v_fma_f32 v47, v47, s77, v1                                // 0000000049A8: D1CB002F 04049B2F
	v_fma_f32 v48, v48, s77, v1                                // 0000000049B0: D1CB0030 04049B30
	v_fma_f32 v49, v49, s77, v1                                // 0000000049B8: D1CB0031 04049B31
	v_mul_f32_e32 v46, v46, v136                               // 0000000049C0: 0A5D112E
	v_mul_f32_e32 v47, v47, v137                               // 0000000049C4: 0A5F132F
	v_mul_f32_e32 v48, v48, v138                               // 0000000049C8: 0A611530
	v_mul_f32_e32 v49, v49, v139                               // 0000000049CC: 0A631731
	v_mul_f32_e64 v46, v46, s6                                 // 0000000049D0: D105002E 00000D2E
	v_mul_f32_e64 v47, v47, s6                                 // 0000000049D8: D105002F 00000D2F
	v_mul_f32_e64 v48, v48, s6                                 // 0000000049E0: D1050030 00000D30
	v_mul_f32_e64 v49, v49, s6                                 // 0000000049E8: D1050031 00000D31
	v_exp_f32_e32 v46, v46                                     // 0000000049F0: 7E5C412E
	v_exp_f32_e32 v47, v47                                     // 0000000049F4: 7E5E412F
	v_exp_f32_e32 v48, v48                                     // 0000000049F8: 7E604130
	v_exp_f32_e32 v49, v49                                     // 0000000049FC: 7E624131
	buffer_load_dwordx4 a[20:23], v37, s[12:15], 0 offen       // 000000004A00: E05C1000 80831425
	v_add_f32_e64 v46, v46, 1.0                                // 000000004A08: D101002E 0001E52E
	v_add_f32_e64 v47, v47, 1.0                                // 000000004A10: D101002F 0001E52F
	v_add_f32_e64 v48, v48, 1.0                                // 000000004A18: D1010030 0001E530
	v_add_f32_e64 v49, v49, 1.0                                // 000000004A20: D1010031 0001E531
	v_rcp_f32_e32 v46, v46                                     // 000000004A28: 7E5C452E
	v_rcp_f32_e32 v47, v47                                     // 000000004A2C: 7E5E452F
	v_rcp_f32_e32 v48, v48                                     // 000000004A30: 7E604530
	v_rcp_f32_e32 v49, v49                                     // 000000004A34: 7E624531
	v_mul_f32_e32 v136, v136, v46                              // 000000004A38: 0B105D88
	v_mul_f32_e32 v137, v137, v47                              // 000000004A3C: 0B125F89
	v_mul_f32_e32 v138, v138, v48                              // 000000004A40: 0B14618A
	v_mul_f32_e32 v139, v139, v49                              // 000000004A44: 0B16638B
	v_mul_f32_e32 v136, v136, v72                              // 000000004A48: 0B109188
	v_mul_f32_e32 v137, v137, v73                              // 000000004A4C: 0B129389
	v_mul_f32_e32 v138, v138, v74                              // 000000004A50: 0B14958A
	v_mul_f32_e32 v139, v139, v75                              // 000000004A54: 0B16978B
	buffer_load_dwordx4 a[24:27], v38, s[12:15], 0 offen       // 000000004A58: E05C1000 80831826
	v_mul_f32_e32 v46, v140, v140                              // 000000004A60: 0A5D198C
	v_mul_f32_e32 v47, v141, v141                              // 000000004A64: 0A5F1B8D
	v_mul_f32_e32 v48, v142, v142                              // 000000004A68: 0A611D8E
	v_mul_f32_e32 v49, v143, v143                              // 000000004A6C: 0A631F8F
	v_fma_f32 v46, v46, s77, v1                                // 000000004A70: D1CB002E 04049B2E
	v_fma_f32 v47, v47, s77, v1                                // 000000004A78: D1CB002F 04049B2F
	v_fma_f32 v48, v48, s77, v1                                // 000000004A80: D1CB0030 04049B30
	v_fma_f32 v49, v49, s77, v1                                // 000000004A88: D1CB0031 04049B31
	v_mul_f32_e32 v46, v46, v140                               // 000000004A90: 0A5D192E
	v_mul_f32_e32 v47, v47, v141                               // 000000004A94: 0A5F1B2F
	v_mul_f32_e32 v48, v48, v142                               // 000000004A98: 0A611D30
	v_mul_f32_e32 v49, v49, v143                               // 000000004A9C: 0A631F31
	v_mul_f32_e64 v46, v46, s6                                 // 000000004AA0: D105002E 00000D2E
	v_mul_f32_e64 v47, v47, s6                                 // 000000004AA8: D105002F 00000D2F
	v_mul_f32_e64 v48, v48, s6                                 // 000000004AB0: D1050030 00000D30
	v_mul_f32_e64 v49, v49, s6                                 // 000000004AB8: D1050031 00000D31
	v_exp_f32_e32 v46, v46                                     // 000000004AC0: 7E5C412E
	v_exp_f32_e32 v47, v47                                     // 000000004AC4: 7E5E412F
	v_exp_f32_e32 v48, v48                                     // 000000004AC8: 7E604130
	v_exp_f32_e32 v49, v49                                     // 000000004ACC: 7E624131
	buffer_load_dwordx4 a[28:31], v39, s[12:15], 0 offen       // 000000004AD0: E05C1000 80831C27
	s_add_u32 s12, s78, s12                                    // 000000004AD8: 800C0C4E
	s_addc_u32 s13, 0, s13                                     // 000000004ADC: 820D0D80
	v_add_f32_e64 v46, v46, 1.0                                // 000000004AE0: D101002E 0001E52E
	v_add_f32_e64 v47, v47, 1.0                                // 000000004AE8: D101002F 0001E52F
	v_add_f32_e64 v48, v48, 1.0                                // 000000004AF0: D1010030 0001E530
	v_add_f32_e64 v49, v49, 1.0                                // 000000004AF8: D1010031 0001E531
	v_rcp_f32_e32 v46, v46                                     // 000000004B00: 7E5C452E
	v_rcp_f32_e32 v47, v47                                     // 000000004B04: 7E5E452F
	v_rcp_f32_e32 v48, v48                                     // 000000004B08: 7E604530
	v_rcp_f32_e32 v49, v49                                     // 000000004B0C: 7E624531
	v_mul_f32_e32 v140, v140, v46                              // 000000004B10: 0B185D8C
	v_mul_f32_e32 v141, v141, v47                              // 000000004B14: 0B1A5F8D
	v_mul_f32_e32 v142, v142, v48                              // 000000004B18: 0B1C618E
	v_mul_f32_e32 v143, v143, v49                              // 000000004B1C: 0B1E638F
	v_mul_f32_e32 v140, v140, v76                              // 000000004B20: 0B18998C
	v_mul_f32_e32 v141, v141, v77                              // 000000004B24: 0B1A9B8D
	v_mul_f32_e32 v142, v142, v78                              // 000000004B28: 0B1C9D8E
	v_mul_f32_e32 v143, v143, v79                              // 000000004B2C: 0B1E9F8F
	s_waitcnt vmcnt(12)                                        // 000000004B30: BF8C0F7C
	buffer_load_dwordx4 a[32:35], v36, s[12:15], 0 offen       // 000000004B34: E05C1000 80832024
	v_mul_f32_e32 v46, v144, v144                              // 000000004B3C: 0A5D2190
	v_mul_f32_e32 v47, v145, v145                              // 000000004B40: 0A5F2391
	v_mul_f32_e32 v48, v146, v146                              // 000000004B44: 0A612592
	v_mul_f32_e32 v49, v147, v147                              // 000000004B48: 0A632793
	v_fma_f32 v46, v46, s77, v1                                // 000000004B4C: D1CB002E 04049B2E
	v_fma_f32 v47, v47, s77, v1                                // 000000004B54: D1CB002F 04049B2F
	v_fma_f32 v48, v48, s77, v1                                // 000000004B5C: D1CB0030 04049B30
	v_fma_f32 v49, v49, s77, v1                                // 000000004B64: D1CB0031 04049B31
	v_mul_f32_e32 v46, v46, v144                               // 000000004B6C: 0A5D212E
	v_mul_f32_e32 v47, v47, v145                               // 000000004B70: 0A5F232F
	v_mul_f32_e32 v48, v48, v146                               // 000000004B74: 0A612530
	v_mul_f32_e32 v49, v49, v147                               // 000000004B78: 0A632731
	v_mul_f32_e64 v46, v46, s6                                 // 000000004B7C: D105002E 00000D2E
	v_mul_f32_e64 v47, v47, s6                                 // 000000004B84: D105002F 00000D2F
	v_mul_f32_e64 v48, v48, s6                                 // 000000004B8C: D1050030 00000D30
	v_mul_f32_e64 v49, v49, s6                                 // 000000004B94: D1050031 00000D31
	v_exp_f32_e32 v46, v46                                     // 000000004B9C: 7E5C412E
	v_exp_f32_e32 v47, v47                                     // 000000004BA0: 7E5E412F
	v_exp_f32_e32 v48, v48                                     // 000000004BA4: 7E604130
	v_exp_f32_e32 v49, v49                                     // 000000004BA8: 7E624131
	buffer_load_dwordx4 a[36:39], v37, s[12:15], 0 offen       // 000000004BAC: E05C1000 80832425
	v_add_f32_e64 v46, v46, 1.0                                // 000000004BB4: D101002E 0001E52E
	v_add_f32_e64 v47, v47, 1.0                                // 000000004BBC: D101002F 0001E52F
	v_add_f32_e64 v48, v48, 1.0                                // 000000004BC4: D1010030 0001E530
	v_add_f32_e64 v49, v49, 1.0                                // 000000004BCC: D1010031 0001E531
	v_rcp_f32_e32 v46, v46                                     // 000000004BD4: 7E5C452E
	v_rcp_f32_e32 v47, v47                                     // 000000004BD8: 7E5E452F
	v_rcp_f32_e32 v48, v48                                     // 000000004BDC: 7E604530
	v_rcp_f32_e32 v49, v49                                     // 000000004BE0: 7E624531
	v_mul_f32_e32 v144, v144, v46                              // 000000004BE4: 0B205D90
	v_mul_f32_e32 v145, v145, v47                              // 000000004BE8: 0B225F91
	v_mul_f32_e32 v146, v146, v48                              // 000000004BEC: 0B246192
	v_mul_f32_e32 v147, v147, v49                              // 000000004BF0: 0B266393
	v_mul_f32_e32 v144, v144, v80                              // 000000004BF4: 0B20A190
	v_mul_f32_e32 v145, v145, v81                              // 000000004BF8: 0B22A391
	v_mul_f32_e32 v146, v146, v82                              // 000000004BFC: 0B24A592
	v_mul_f32_e32 v147, v147, v83                              // 000000004C00: 0B26A793
	buffer_load_dwordx4 a[40:43], v38, s[12:15], 0 offen       // 000000004C04: E05C1000 80832826
	v_mul_f32_e32 v46, v148, v148                              // 000000004C0C: 0A5D2994
	v_mul_f32_e32 v47, v149, v149                              // 000000004C10: 0A5F2B95
	v_mul_f32_e32 v48, v150, v150                              // 000000004C14: 0A612D96
	v_mul_f32_e32 v49, v151, v151                              // 000000004C18: 0A632F97
	v_fma_f32 v46, v46, s77, v1                                // 000000004C1C: D1CB002E 04049B2E
	v_fma_f32 v47, v47, s77, v1                                // 000000004C24: D1CB002F 04049B2F
	v_fma_f32 v48, v48, s77, v1                                // 000000004C2C: D1CB0030 04049B30
	v_fma_f32 v49, v49, s77, v1                                // 000000004C34: D1CB0031 04049B31
	v_mul_f32_e32 v46, v46, v148                               // 000000004C3C: 0A5D292E
	v_mul_f32_e32 v47, v47, v149                               // 000000004C40: 0A5F2B2F
	v_mul_f32_e32 v48, v48, v150                               // 000000004C44: 0A612D30
	v_mul_f32_e32 v49, v49, v151                               // 000000004C48: 0A632F31
	v_mul_f32_e64 v46, v46, s6                                 // 000000004C4C: D105002E 00000D2E
	v_mul_f32_e64 v47, v47, s6                                 // 000000004C54: D105002F 00000D2F
	v_mul_f32_e64 v48, v48, s6                                 // 000000004C5C: D1050030 00000D30
	v_mul_f32_e64 v49, v49, s6                                 // 000000004C64: D1050031 00000D31
	v_exp_f32_e32 v46, v46                                     // 000000004C6C: 7E5C412E
	v_exp_f32_e32 v47, v47                                     // 000000004C70: 7E5E412F
	v_exp_f32_e32 v48, v48                                     // 000000004C74: 7E604130
	v_exp_f32_e32 v49, v49                                     // 000000004C78: 7E624131
	buffer_load_dwordx4 a[44:47], v39, s[12:15], 0 offen       // 000000004C7C: E05C1000 80832C27
	s_add_u32 s12, s78, s12                                    // 000000004C84: 800C0C4E
	s_addc_u32 s13, 0, s13                                     // 000000004C88: 820D0D80
	v_add_f32_e64 v46, v46, 1.0                                // 000000004C8C: D101002E 0001E52E
	v_add_f32_e64 v47, v47, 1.0                                // 000000004C94: D101002F 0001E52F
	v_add_f32_e64 v48, v48, 1.0                                // 000000004C9C: D1010030 0001E530
	v_add_f32_e64 v49, v49, 1.0                                // 000000004CA4: D1010031 0001E531
	v_rcp_f32_e32 v46, v46                                     // 000000004CAC: 7E5C452E
	v_rcp_f32_e32 v47, v47                                     // 000000004CB0: 7E5E452F
	v_rcp_f32_e32 v48, v48                                     // 000000004CB4: 7E604530
	v_rcp_f32_e32 v49, v49                                     // 000000004CB8: 7E624531
	v_mul_f32_e32 v148, v148, v46                              // 000000004CBC: 0B285D94
	v_mul_f32_e32 v149, v149, v47                              // 000000004CC0: 0B2A5F95
	v_mul_f32_e32 v150, v150, v48                              // 000000004CC4: 0B2C6196
	v_mul_f32_e32 v151, v151, v49                              // 000000004CC8: 0B2E6397
	v_mul_f32_e32 v148, v148, v84                              // 000000004CCC: 0B28A994
	v_mul_f32_e32 v149, v149, v85                              // 000000004CD0: 0B2AAB95
	v_mul_f32_e32 v150, v150, v86                              // 000000004CD4: 0B2CAD96
	v_mul_f32_e32 v151, v151, v87                              // 000000004CD8: 0B2EAF97
	s_waitcnt vmcnt(12)                                        // 000000004CDC: BF8C0F7C
	buffer_load_dwordx4 a[48:51], v36, s[12:15], 0 offen       // 000000004CE0: E05C1000 80833024
	v_mul_f32_e32 v46, v152, v152                              // 000000004CE8: 0A5D3198
	v_mul_f32_e32 v47, v153, v153                              // 000000004CEC: 0A5F3399
	v_mul_f32_e32 v48, v154, v154                              // 000000004CF0: 0A61359A
	v_mul_f32_e32 v49, v155, v155                              // 000000004CF4: 0A63379B
	v_fma_f32 v46, v46, s77, v1                                // 000000004CF8: D1CB002E 04049B2E
	v_fma_f32 v47, v47, s77, v1                                // 000000004D00: D1CB002F 04049B2F
	v_fma_f32 v48, v48, s77, v1                                // 000000004D08: D1CB0030 04049B30
	v_fma_f32 v49, v49, s77, v1                                // 000000004D10: D1CB0031 04049B31
	v_mul_f32_e32 v46, v46, v152                               // 000000004D18: 0A5D312E
	v_mul_f32_e32 v47, v47, v153                               // 000000004D1C: 0A5F332F
	v_mul_f32_e32 v48, v48, v154                               // 000000004D20: 0A613530
	v_mul_f32_e32 v49, v49, v155                               // 000000004D24: 0A633731
	v_mul_f32_e64 v46, v46, s6                                 // 000000004D28: D105002E 00000D2E
	v_mul_f32_e64 v47, v47, s6                                 // 000000004D30: D105002F 00000D2F
	v_mul_f32_e64 v48, v48, s6                                 // 000000004D38: D1050030 00000D30
	v_mul_f32_e64 v49, v49, s6                                 // 000000004D40: D1050031 00000D31
	v_exp_f32_e32 v46, v46                                     // 000000004D48: 7E5C412E
	v_exp_f32_e32 v47, v47                                     // 000000004D4C: 7E5E412F
	v_exp_f32_e32 v48, v48                                     // 000000004D50: 7E604130
	v_exp_f32_e32 v49, v49                                     // 000000004D54: 7E624131
	buffer_load_dwordx4 a[52:55], v37, s[12:15], 0 offen       // 000000004D58: E05C1000 80833425
	v_add_f32_e64 v46, v46, 1.0                                // 000000004D60: D101002E 0001E52E
	v_add_f32_e64 v47, v47, 1.0                                // 000000004D68: D101002F 0001E52F
	v_add_f32_e64 v48, v48, 1.0                                // 000000004D70: D1010030 0001E530
	v_add_f32_e64 v49, v49, 1.0                                // 000000004D78: D1010031 0001E531
	v_rcp_f32_e32 v46, v46                                     // 000000004D80: 7E5C452E
	v_rcp_f32_e32 v47, v47                                     // 000000004D84: 7E5E452F
	v_rcp_f32_e32 v48, v48                                     // 000000004D88: 7E604530
	v_rcp_f32_e32 v49, v49                                     // 000000004D8C: 7E624531
	v_mul_f32_e32 v152, v152, v46                              // 000000004D90: 0B305D98
	v_mul_f32_e32 v153, v153, v47                              // 000000004D94: 0B325F99
	v_mul_f32_e32 v154, v154, v48                              // 000000004D98: 0B34619A
	v_mul_f32_e32 v155, v155, v49                              // 000000004D9C: 0B36639B
	v_mul_f32_e32 v152, v152, v88                              // 000000004DA0: 0B30B198
	v_mul_f32_e32 v153, v153, v89                              // 000000004DA4: 0B32B399
	v_mul_f32_e32 v154, v154, v90                              // 000000004DA8: 0B34B59A
	v_mul_f32_e32 v155, v155, v91                              // 000000004DAC: 0B36B79B
	buffer_load_dwordx4 a[56:59], v38, s[12:15], 0 offen       // 000000004DB0: E05C1000 80833826
	v_mul_f32_e32 v46, v156, v156                              // 000000004DB8: 0A5D399C
	v_mul_f32_e32 v47, v157, v157                              // 000000004DBC: 0A5F3B9D
	v_mul_f32_e32 v48, v158, v158                              // 000000004DC0: 0A613D9E
	v_mul_f32_e32 v49, v159, v159                              // 000000004DC4: 0A633F9F
	v_fma_f32 v46, v46, s77, v1                                // 000000004DC8: D1CB002E 04049B2E
	v_fma_f32 v47, v47, s77, v1                                // 000000004DD0: D1CB002F 04049B2F
	v_fma_f32 v48, v48, s77, v1                                // 000000004DD8: D1CB0030 04049B30
	v_fma_f32 v49, v49, s77, v1                                // 000000004DE0: D1CB0031 04049B31
	v_mul_f32_e32 v46, v46, v156                               // 000000004DE8: 0A5D392E
	v_mul_f32_e32 v47, v47, v157                               // 000000004DEC: 0A5F3B2F
	v_mul_f32_e32 v48, v48, v158                               // 000000004DF0: 0A613D30
	v_mul_f32_e32 v49, v49, v159                               // 000000004DF4: 0A633F31
	v_mul_f32_e64 v46, v46, s6                                 // 000000004DF8: D105002E 00000D2E
	v_mul_f32_e64 v47, v47, s6                                 // 000000004E00: D105002F 00000D2F
	v_mul_f32_e64 v48, v48, s6                                 // 000000004E08: D1050030 00000D30
	v_mul_f32_e64 v49, v49, s6                                 // 000000004E10: D1050031 00000D31
	v_exp_f32_e32 v46, v46                                     // 000000004E18: 7E5C412E
	v_exp_f32_e32 v47, v47                                     // 000000004E1C: 7E5E412F
	v_exp_f32_e32 v48, v48                                     // 000000004E20: 7E604130
	v_exp_f32_e32 v49, v49                                     // 000000004E24: 7E624131
	buffer_load_dwordx4 a[60:63], v39, s[12:15], 0 offen       // 000000004E28: E05C1000 80833C27
	v_add_f32_e64 v46, v46, 1.0                                // 000000004E30: D101002E 0001E52E
	v_add_f32_e64 v47, v47, 1.0                                // 000000004E38: D101002F 0001E52F
	v_add_f32_e64 v48, v48, 1.0                                // 000000004E40: D1010030 0001E530
	v_add_f32_e64 v49, v49, 1.0                                // 000000004E48: D1010031 0001E531
	v_rcp_f32_e32 v46, v46                                     // 000000004E50: 7E5C452E
	v_rcp_f32_e32 v47, v47                                     // 000000004E54: 7E5E452F
	v_rcp_f32_e32 v48, v48                                     // 000000004E58: 7E604530
	v_rcp_f32_e32 v49, v49                                     // 000000004E5C: 7E624531
	v_mul_f32_e32 v156, v156, v46                              // 000000004E60: 0B385D9C
	v_mul_f32_e32 v157, v157, v47                              // 000000004E64: 0B3A5F9D
	v_mul_f32_e32 v158, v158, v48                              // 000000004E68: 0B3C619E
	v_mul_f32_e32 v159, v159, v49                              // 000000004E6C: 0B3E639F
	v_mul_f32_e32 v156, v156, v92                              // 000000004E70: 0B38B99C
	v_mul_f32_e32 v157, v157, v93                              // 000000004E74: 0B3ABB9D
	v_mul_f32_e32 v158, v158, v94                              // 000000004E78: 0B3CBD9E
	v_mul_f32_e32 v159, v159, v95                              // 000000004E7C: 0B3EBF9F
	v_lshlrev_b32_e32 v46, 2, v0                               // 000000004E80: 245C0082
	s_mul_i32 s60, s82, s71                                    // 000000004E84: 923C4752
	v_add_u32_e64 v80, v46, s60                                // 000000004E88: D1340050 0000792E
	v_mov_b32_e32 v81, 0                                       // 000000004E90: 7EA20280
	s_mul_i32 s60, s83, s71                                    // 000000004E94: 923C4753
	v_add_u32_e64 v82, v46, s60                                // 000000004E98: D1340052 0000792E
	v_mov_b32_e32 v83, 0                                       // 000000004EA0: 7EA60280
	s_mul_i32 s60, s84, s71                                    // 000000004EA4: 923C4754
	v_add_u32_e64 v84, v46, s60                                // 000000004EA8: D1340054 0000792E
	v_mov_b32_e32 v85, 0                                       // 000000004EB0: 7EAA0280
	s_mul_i32 s60, s85, s71                                    // 000000004EB4: 923C4755
	v_add_u32_e64 v86, v46, s60                                // 000000004EB8: D1340056 0000792E
	v_mov_b32_e32 v87, 0                                       // 000000004EC0: 7EAE0280
	s_mul_i32 s60, s86, s71                                    // 000000004EC4: 923C4756
	v_add_u32_e64 v88, v46, s60                                // 000000004EC8: D1340058 0000792E
	v_mov_b32_e32 v89, 0                                       // 000000004ED0: 7EB20280
	s_mul_i32 s60, s87, s71                                    // 000000004ED4: 923C4757
	v_add_u32_e64 v90, v46, s60                                // 000000004ED8: D134005A 0000792E
	v_mov_b32_e32 v91, 0                                       // 000000004EE0: 7EB60280
	s_mul_i32 s60, s88, s71                                    // 000000004EE4: 923C4758
	v_add_u32_e64 v92, v46, s60                                // 000000004EE8: D134005C 0000792E
	v_mov_b32_e32 v93, 0                                       // 000000004EF0: 7EBA0280
	s_mul_i32 s60, s89, s71                                    // 000000004EF4: 923C4759
	v_add_u32_e64 v94, v46, s60                                // 000000004EF8: D134005E 0000792E
	v_mov_b32_e32 v95, 0                                       // 000000004F00: 7EBE0280
	buffer_load_dword v11, v5, s[16:19], 0 offen               // 000000004F04: E0501000 80040B05
	v_mov_b32_e32 v20, 0x358637bd                              // 000000004F0C: 7E2802FF 358637BD
	v_mov_b32_e32 v21, 0x358637bd                              // 000000004F14: 7E2A02FF 358637BD
	v_max3_f32 v20, |v128|, |v129|, v20                        // 000000004F1C: D1D30314 04530380
	v_max3_f32 v20, |v130|, |v131|, v20                        // 000000004F24: D1D30314 04530782
	v_max3_f32 v21, |v132|, |v133|, v21                        // 000000004F2C: D1D30315 04570B84
	v_max3_f32 v21, |v134|, |v135|, v21                        // 000000004F34: D1D30315 04570F86
	v_max3_f32 v20, |v136|, |v137|, v20                        // 000000004F3C: D1D30314 04531388
	v_max3_f32 v20, |v138|, |v139|, v20                        // 000000004F44: D1D30314 0453178A
	v_max3_f32 v21, |v140|, |v141|, v21                        // 000000004F4C: D1D30315 04571B8C
	v_max3_f32 v21, |v142|, |v143|, v21                        // 000000004F54: D1D30315 04571F8E
	v_max3_f32 v20, |v144|, |v145|, v20                        // 000000004F5C: D1D30314 04532390
	v_max3_f32 v20, |v146|, |v147|, v20                        // 000000004F64: D1D30314 04532792
	v_max3_f32 v21, |v148|, |v149|, v21                        // 000000004F6C: D1D30315 04572B94
	v_max3_f32 v21, |v150|, |v151|, v21                        // 000000004F74: D1D30315 04572F96
	v_max3_f32 v20, |v152|, |v153|, v20                        // 000000004F7C: D1D30314 04533398
	v_max3_f32 v20, |v154|, |v155|, v20                        // 000000004F84: D1D30314 0453379A
	v_max3_f32 v21, |v156|, |v157|, v21                        // 000000004F8C: D1D30315 04573B9C
	v_max3_f32 v21, |v158|, |v159|, v21                        // 000000004F94: D1D30315 04573F9E
	v_lshlrev_b32_e32 v46, 3, v0                               // 000000004F9C: 245C0083
	s_mul_i32 s60, 0x200, s7                                   // 000000004FA0: 923C07FF 00000200
	v_add_u32_e32 v46, s60, v46                                // 000000004FA8: 685C5C3C
	ds_write_b64 v46, v[20:21] offset:16640                    // 000000004FAC: D89A4100 0000142E
	s_waitcnt lgkmcnt(0)                                       // 000000004FB4: BF8CC07F
	s_barrier                                                  // 000000004FB8: BF8A0000
	v_and_b32_e32 v46, 15, v0                                  // 000000004FBC: 265C008F
	v_lshlrev_b32_e32 v46, 3, v46                              // 000000004FC0: 245C5C83
	ds_read_b64 v[96:97], v46 offset:16640                     // 000000004FC4: D8EC4100 6000002E
	ds_read_b64 v[98:99], v46 offset:16768                     // 000000004FCC: D8EC4180 6200002E
	ds_read_b64 v[100:101], v46 offset:16896                   // 000000004FD4: D8EC4200 6400002E
	ds_read_b64 v[102:103], v46 offset:17024                   // 000000004FDC: D8EC4280 6600002E
	ds_read_b64 v[104:105], v46 offset:17152                   // 000000004FE4: D8EC4300 6800002E
	ds_read_b64 v[106:107], v46 offset:17280                   // 000000004FEC: D8EC4380 6A00002E
	ds_read_b64 v[108:109], v46 offset:17408                   // 000000004FF4: D8EC4400 6C00002E
	ds_read_b64 v[110:111], v46 offset:17536                   // 000000004FFC: D8EC4480 6E00002E
	ds_read_b64 v[112:113], v46 offset:17664                   // 000000005004: D8EC4500 7000002E
	ds_read_b64 v[114:115], v46 offset:17792                   // 00000000500C: D8EC4580 7200002E
	ds_read_b64 v[116:117], v46 offset:17920                   // 000000005014: D8EC4600 7400002E
	ds_read_b64 v[118:119], v46 offset:18048                   // 00000000501C: D8EC4680 7600002E
	ds_read_b64 v[120:121], v46 offset:18176                   // 000000005024: D8EC4700 7800002E
	ds_read_b64 v[122:123], v46 offset:18304                   // 00000000502C: D8EC4780 7A00002E
	ds_read_b64 v[124:125], v46 offset:18432                   // 000000005034: D8EC4800 7C00002E
	ds_read_b64 v[126:127], v46 offset:18560                   // 00000000503C: D8EC4880 7E00002E
	s_waitcnt lgkmcnt(0)                                       // 000000005044: BF8CC07F
	v_max3_f32 v20, |v96|, |v98|, v20                          // 000000005048: D1D30314 0452C560
	v_max3_f32 v21, |v97|, |v99|, v21                          // 000000005050: D1D30315 0456C761
	v_max3_f32 v20, |v100|, |v102|, v20                        // 000000005058: D1D30314 0452CD64
	v_max3_f32 v21, |v101|, |v103|, v21                        // 000000005060: D1D30315 0456CF65
	v_max3_f32 v20, |v104|, |v106|, v20                        // 000000005068: D1D30314 0452D568
	v_max3_f32 v21, |v105|, |v107|, v21                        // 000000005070: D1D30315 0456D769
	v_max3_f32 v20, |v108|, |v110|, v20                        // 000000005078: D1D30314 0452DD6C
	v_max3_f32 v21, |v109|, |v111|, v21                        // 000000005080: D1D30315 0456DF6D
	v_max3_f32 v20, |v112|, |v114|, v20                        // 000000005088: D1D30314 0452E570
	v_max3_f32 v21, |v113|, |v115|, v21                        // 000000005090: D1D30315 0456E771
	v_max3_f32 v20, |v116|, |v118|, v20                        // 000000005098: D1D30314 0452ED74
	v_max3_f32 v21, |v117|, |v119|, v21                        // 0000000050A0: D1D30315 0456EF75
	v_max3_f32 v20, |v120|, |v122|, v20                        // 0000000050A8: D1D30314 0452F578
	v_max3_f32 v21, |v121|, |v123|, v21                        // 0000000050B0: D1D30315 0456F779
	v_max3_f32 v20, |v124|, |v126|, v20                        // 0000000050B8: D1D30314 0452FD7C
	v_max3_f32 v21, |v125|, |v127|, v21                        // 0000000050C0: D1D30315 0456FF7D
	v_rcp_f32_e32 v20, v20                                     // 0000000050C8: 7E284514
	v_rcp_f32_e32 v21, v21                                     // 0000000050CC: 7E2A4515
	v_mov_b32_e32 v46, 0x43700000                              // 0000000050D0: 7E5C02FF 43700000
	v_mul_f32_e32 v20, v46, v20                                // 0000000050D8: 0A28292E
	v_mul_f32_e32 v21, v46, v21                                // 0000000050DC: 0A2A2B2E
	v_mul_f32_e32 v128, v20, v128                              // 0000000050E0: 0B010114
	v_mul_f32_e32 v129, v20, v129                              // 0000000050E4: 0B030314
	v_mul_f32_e32 v130, v20, v130                              // 0000000050E8: 0B050514
	v_mul_f32_e32 v131, v20, v131                              // 0000000050EC: 0B070714
	v_cvt_pk_fp8_f32 v128, v128, v129                          // 0000000050F0: D2A20080 00030380
	v_cvt_pk_fp8_f32 v128, v130, v131 op_sel:[0,0,1]           // 0000000050F8: D2A24080 00030782
	v_mul_f32_e32 v132, v21, v132                              // 000000005100: 0B090915
	v_mul_f32_e32 v133, v21, v133                              // 000000005104: 0B0B0B15
	v_mul_f32_e32 v134, v21, v134                              // 000000005108: 0B0D0D15
	v_mul_f32_e32 v135, v21, v135                              // 00000000510C: 0B0F0F15
	v_cvt_pk_fp8_f32 v129, v132, v133                          // 000000005110: D2A20081 00030B84
	v_cvt_pk_fp8_f32 v129, v134, v135 op_sel:[0,0,1]           // 000000005118: D2A24081 00030F86
	v_mul_f32_e32 v136, v20, v136                              // 000000005120: 0B111114
	v_mul_f32_e32 v137, v20, v137                              // 000000005124: 0B131314
	v_mul_f32_e32 v138, v20, v138                              // 000000005128: 0B151514
	v_mul_f32_e32 v139, v20, v139                              // 00000000512C: 0B171714
	v_cvt_pk_fp8_f32 v130, v136, v137                          // 000000005130: D2A20082 00031388
	v_cvt_pk_fp8_f32 v130, v138, v139 op_sel:[0,0,1]           // 000000005138: D2A24082 0003178A
	v_mul_f32_e32 v140, v21, v140                              // 000000005140: 0B191915
	v_mul_f32_e32 v141, v21, v141                              // 000000005144: 0B1B1B15
	v_mul_f32_e32 v142, v21, v142                              // 000000005148: 0B1D1D15
	v_mul_f32_e32 v143, v21, v143                              // 00000000514C: 0B1F1F15
	v_cvt_pk_fp8_f32 v131, v140, v141                          // 000000005150: D2A20083 00031B8C
	v_cvt_pk_fp8_f32 v131, v142, v143 op_sel:[0,0,1]           // 000000005158: D2A24083 00031F8E
	v_mul_f32_e32 v144, v20, v144                              // 000000005160: 0B212114
	v_mul_f32_e32 v145, v20, v145                              // 000000005164: 0B232314
	v_mul_f32_e32 v146, v20, v146                              // 000000005168: 0B252514
	v_mul_f32_e32 v147, v20, v147                              // 00000000516C: 0B272714
	v_cvt_pk_fp8_f32 v132, v144, v145                          // 000000005170: D2A20084 00032390
	v_cvt_pk_fp8_f32 v132, v146, v147 op_sel:[0,0,1]           // 000000005178: D2A24084 00032792
	v_mul_f32_e32 v148, v21, v148                              // 000000005180: 0B292915
	v_mul_f32_e32 v149, v21, v149                              // 000000005184: 0B2B2B15
	v_mul_f32_e32 v150, v21, v150                              // 000000005188: 0B2D2D15
	v_mul_f32_e32 v151, v21, v151                              // 00000000518C: 0B2F2F15
	v_cvt_pk_fp8_f32 v133, v148, v149                          // 000000005190: D2A20085 00032B94
	v_cvt_pk_fp8_f32 v133, v150, v151 op_sel:[0,0,1]           // 000000005198: D2A24085 00032F96
	v_mul_f32_e32 v152, v20, v152                              // 0000000051A0: 0B313114
	v_mul_f32_e32 v153, v20, v153                              // 0000000051A4: 0B333314
	v_mul_f32_e32 v154, v20, v154                              // 0000000051A8: 0B353514
	v_mul_f32_e32 v155, v20, v155                              // 0000000051AC: 0B373714
	v_cvt_pk_fp8_f32 v134, v152, v153                          // 0000000051B0: D2A20086 00033398
	v_cvt_pk_fp8_f32 v134, v154, v155 op_sel:[0,0,1]           // 0000000051B8: D2A24086 0003379A
	v_mul_f32_e32 v156, v21, v156                              // 0000000051C0: 0B393915
	v_mul_f32_e32 v157, v21, v157                              // 0000000051C4: 0B3B3B15
	v_mul_f32_e32 v158, v21, v158                              // 0000000051C8: 0B3D3D15
	v_mul_f32_e32 v159, v21, v159                              // 0000000051CC: 0B3F3F15
	v_cvt_pk_fp8_f32 v135, v156, v157                          // 0000000051D0: D2A20087 00033B9C
	v_cvt_pk_fp8_f32 v135, v158, v159 op_sel:[0,0,1]           // 0000000051D8: D2A24087 00033F9E
	v_rcp_f32_e32 v22, v20                                     // 0000000051E0: 7E2C4514
	v_rcp_f32_e32 v23, v21                                     // 0000000051E4: 7E2E4515
	v_lshrrev_b32_e32 v46, 5, v0                               // 0000000051E8: 205C0085
	v_lshlrev_b32_e32 v47, 5, v46                              // 0000000051EC: 245E5C85
	v_and_b32_e32 v46, 31, v0                                  // 0000000051F0: 265C009F
	v_lshrrev_b32_e32 v48, 4, v46                              // 0000000051F4: 20605C84
	v_add_u32_e32 v47, v48, v47                                // 0000000051F8: 685E5F30
	v_and_b32_e32 v46, 15, v0                                  // 0000000051FC: 265C008F
	v_lshlrev_b32_e32 v46, 1, v46                              // 000000005200: 245C5C81
	v_add_u32_e32 v47, v46, v47                                // 000000005204: 685E5F2E
	v_lshlrev_b32_e32 v46, 2, v47                              // 000000005208: 245C5E82
	s_mul_i32 s60, 0x100, s7                                   // 00000000520C: 923C07FF 00000100
	v_add_u32_e64 v46, v46, s60                                // 000000005214: D134002E 0000792E
	ds_write_b32 v46, v128 offset:18688                        // 00000000521C: D81A4900 0000802E
	ds_write_b32 v46, v129 offset:22784                        // 000000005224: D81A5900 0000812E
	ds_write_b32 v46, v130 offset:19712                        // 00000000522C: D81A4D00 0000822E
	ds_write_b32 v46, v131 offset:23808                        // 000000005234: D81A5D00 0000832E
	ds_write_b32 v46, v132 offset:20736                        // 00000000523C: D81A5100 0000842E
	ds_write_b32 v46, v133 offset:24832                        // 000000005244: D81A6100 0000852E
	ds_write_b32 v46, v134 offset:21760                        // 00000000524C: D81A5500 0000862E
	ds_write_b32 v46, v135 offset:25856                        // 000000005254: D81A6500 0000872E
	s_waitcnt lgkmcnt(0)                                       // 00000000525C: BF8CC07F
	s_barrier                                                  // 000000005260: BF8A0000
	v_lshrrev_b32_e32 v46, 4, v0                               // 000000005264: 205C0084
	v_lshlrev_b32_e32 v47, 6, v46                              // 000000005268: 245E5C86
	v_and_b32_e32 v46, 15, v0                                  // 00000000526C: 265C008F
	v_lshlrev_b32_e32 v46, 1, v46                              // 000000005270: 245C5C81
	v_add_u32_e32 v47, v46, v47                                // 000000005274: 685E5F2E
	v_lshlrev_b32_e32 v46, 2, v47                              // 000000005278: 245C5E82
	ds_read_b64 v[128:129], v46 offset:18688                   // 00000000527C: D8EC4900 8000002E
	ds_read_b64 v[130:131], v46 offset:18816                   // 000000005284: D8EC4980 8200002E
	ds_read_b64 v[132:133], v46 offset:19712                   // 00000000528C: D8EC4D00 8400002E
	ds_read_b64 v[134:135], v46 offset:19840                   // 000000005294: D8EC4D80 8600002E
	ds_read_b64 v[136:137], v46 offset:20736                   // 00000000529C: D8EC5100 8800002E
	ds_read_b64 v[138:139], v46 offset:20864                   // 0000000052A4: D8EC5180 8A00002E
	ds_read_b64 v[140:141], v46 offset:21760                   // 0000000052AC: D8EC5500 8C00002E
	ds_read_b64 v[142:143], v46 offset:21888                   // 0000000052B4: D8EC5580 8E00002E
	ds_read_b64 v[144:145], v46 offset:22784                   // 0000000052BC: D8EC5900 9000002E
	ds_read_b64 v[146:147], v46 offset:22912                   // 0000000052C4: D8EC5980 9200002E
	ds_read_b64 v[148:149], v46 offset:23808                   // 0000000052CC: D8EC5D00 9400002E
	ds_read_b64 v[150:151], v46 offset:23936                   // 0000000052D4: D8EC5D80 9600002E
	ds_read_b64 v[152:153], v46 offset:24832                   // 0000000052DC: D8EC6100 9800002E
	ds_read_b64 v[154:155], v46 offset:24960                   // 0000000052E4: D8EC6180 9A00002E
	ds_read_b64 v[156:157], v46 offset:25856                   // 0000000052EC: D8EC6500 9C00002E
	ds_read_b64 v[158:159], v46 offset:25984                   // 0000000052F4: D8EC6580 9E00002E
	s_add_u32 s12, s56, s12                                    // 0000000052FC: 800C0C38
	s_addc_u32 s13, 0, s13                                     // 000000005300: 820D0D80
	s_add_u32 s16, s79, s16                                    // 000000005304: 8010104F
	s_addc_u32 s17, 0, s17                                     // 000000005308: 82111180
	s_mov_b32 s80, 0                                           // 00000000530C: BED00080
	s_waitcnt vmcnt(0) expcnt(0) lgkmcnt(0)                    // 000000005310: BF8C0000

0000000000005314 <label_0945>:
	s_waitcnt vmcnt(29)                                        // 000000005314: BF8C4F7D
	s_barrier                                                  // 000000005318: BF8A0000
	v_mfma_f32_16x16x32_fp8_fp8 v[160:163], a[0:1], v[128:129], 0// 00000000531C: D3F300A0 0A030100
	v_mfma_f32_16x16x32_fp8_fp8 v[160:163], a[2:3], v[130:131], v[160:163]// 000000005324: D3F300A0 0E830502
	buffer_load_dwordx4 a[64:67], v36, s[12:15], 0 offen       // 00000000532C: E05C1000 80834024
	v_mfma_f32_16x16x32_fp8_fp8 v[164:167], a[0:1], v[144:145], 0// 000000005334: D3F300A4 0A032100
	v_mfma_f32_16x16x32_fp8_fp8 v[164:167], a[2:3], v[146:147], v[164:167]// 00000000533C: D3F300A4 0E932502
	v_mfma_f32_16x16x32_fp8_fp8 v[168:171], a[4:5], v[128:129], 0// 000000005344: D3F300A8 0A030104
	v_mfma_f32_16x16x32_fp8_fp8 v[168:171], a[6:7], v[130:131], v[168:171]// 00000000534C: D3F300A8 0EA30506
	buffer_load_dwordx4 a[68:71], v37, s[12:15], 0 offen       // 000000005354: E05C1000 80834425
	v_mfma_f32_16x16x32_fp8_fp8 v[172:175], a[4:5], v[144:145], 0// 00000000535C: D3F300AC 0A032104
	v_mfma_f32_16x16x32_fp8_fp8 v[172:175], a[6:7], v[146:147], v[172:175]// 000000005364: D3F300AC 0EB32506
	v_mfma_f32_16x16x32_fp8_fp8 v[176:179], a[8:9], v[128:129], 0// 00000000536C: D3F300B0 0A030108
	v_mfma_f32_16x16x32_fp8_fp8 v[176:179], a[10:11], v[130:131], v[176:179]// 000000005374: D3F300B0 0EC3050A
	buffer_load_dwordx4 a[72:75], v38, s[12:15], 0 offen       // 00000000537C: E05C1000 80834826
	v_mfma_f32_16x16x32_fp8_fp8 v[180:183], a[8:9], v[144:145], 0// 000000005384: D3F300B4 0A032108
	v_mfma_f32_16x16x32_fp8_fp8 v[180:183], a[10:11], v[146:147], v[180:183]// 00000000538C: D3F300B4 0ED3250A
	v_mfma_f32_16x16x32_fp8_fp8 v[184:187], a[12:13], v[128:129], 0// 000000005394: D3F300B8 0A03010C
	v_mfma_f32_16x16x32_fp8_fp8 v[184:187], a[14:15], v[130:131], v[184:187]// 00000000539C: D3F300B8 0EE3050E
	buffer_load_dwordx4 a[76:79], v39, s[12:15], 0 offen       // 0000000053A4: E05C1000 80834C27
	s_add_u32 s12, s78, s12                                    // 0000000053AC: 800C0C4E
	s_addc_u32 s13, 0, s13                                     // 0000000053B0: 820D0D80
	v_mfma_f32_16x16x32_fp8_fp8 v[188:191], a[12:13], v[144:145], 0// 0000000053B4: D3F300BC 0A03210C
	v_mfma_f32_16x16x32_fp8_fp8 v[188:191], a[14:15], v[146:147], v[188:191]// 0000000053BC: D3F300BC 0EF3250E
	s_waitcnt vmcnt(29)                                        // 0000000053C4: BF8C4F7D
	v_mfma_f32_16x16x32_fp8_fp8 v[160:163], a[16:17], v[132:133], v[160:163]// 0000000053C8: D3F300A0 0E830910
	v_mfma_f32_16x16x32_fp8_fp8 v[160:163], a[18:19], v[134:135], v[160:163]// 0000000053D0: D3F300A0 0E830D12
	buffer_load_dwordx4 a[80:83], v36, s[12:15], 0 offen       // 0000000053D8: E05C1000 80835024
	v_mfma_f32_16x16x32_fp8_fp8 v[164:167], a[16:17], v[148:149], v[164:167]// 0000000053E0: D3F300A4 0E932910
	v_mfma_f32_16x16x32_fp8_fp8 v[164:167], a[18:19], v[150:151], v[164:167]// 0000000053E8: D3F300A4 0E932D12
	v_mfma_f32_16x16x32_fp8_fp8 v[168:171], a[20:21], v[132:133], v[168:171]// 0000000053F0: D3F300A8 0EA30914
	v_mfma_f32_16x16x32_fp8_fp8 v[168:171], a[22:23], v[134:135], v[168:171]// 0000000053F8: D3F300A8 0EA30D16
	buffer_load_dwordx4 a[84:87], v37, s[12:15], 0 offen       // 000000005400: E05C1000 80835425
	v_mfma_f32_16x16x32_fp8_fp8 v[172:175], a[20:21], v[148:149], v[172:175]// 000000005408: D3F300AC 0EB32914
	v_mfma_f32_16x16x32_fp8_fp8 v[172:175], a[22:23], v[150:151], v[172:175]// 000000005410: D3F300AC 0EB32D16
	v_mfma_f32_16x16x32_fp8_fp8 v[176:179], a[24:25], v[132:133], v[176:179]// 000000005418: D3F300B0 0EC30918
	v_mfma_f32_16x16x32_fp8_fp8 v[176:179], a[26:27], v[134:135], v[176:179]// 000000005420: D3F300B0 0EC30D1A
	buffer_load_dwordx4 a[88:91], v38, s[12:15], 0 offen       // 000000005428: E05C1000 80835826
	v_mfma_f32_16x16x32_fp8_fp8 v[180:183], a[24:25], v[148:149], v[180:183]// 000000005430: D3F300B4 0ED32918
	v_mfma_f32_16x16x32_fp8_fp8 v[180:183], a[26:27], v[150:151], v[180:183]// 000000005438: D3F300B4 0ED32D1A
	v_mfma_f32_16x16x32_fp8_fp8 v[184:187], a[28:29], v[132:133], v[184:187]// 000000005440: D3F300B8 0EE3091C
	v_mfma_f32_16x16x32_fp8_fp8 v[184:187], a[30:31], v[134:135], v[184:187]// 000000005448: D3F300B8 0EE30D1E
	buffer_load_dwordx4 a[92:95], v39, s[12:15], 0 offen       // 000000005450: E05C1000 80835C27
	s_add_u32 s12, s78, s12                                    // 000000005458: 800C0C4E
	s_addc_u32 s13, 0, s13                                     // 00000000545C: 820D0D80
	v_mfma_f32_16x16x32_fp8_fp8 v[188:191], a[28:29], v[148:149], v[188:191]// 000000005460: D3F300BC 0EF3291C
	v_mfma_f32_16x16x32_fp8_fp8 v[188:191], a[30:31], v[150:151], v[188:191]// 000000005468: D3F300BC 0EF32D1E
	s_waitcnt vmcnt(29)                                        // 000000005470: BF8C4F7D
	v_mfma_f32_16x16x32_fp8_fp8 v[160:163], a[32:33], v[136:137], v[160:163]// 000000005474: D3F300A0 0E831120
	v_mfma_f32_16x16x32_fp8_fp8 v[160:163], a[34:35], v[138:139], v[160:163]// 00000000547C: D3F300A0 0E831522
	buffer_load_dwordx4 a[96:99], v36, s[12:15], 0 offen       // 000000005484: E05C1000 80836024
	v_mfma_f32_16x16x32_fp8_fp8 v[164:167], a[32:33], v[152:153], v[164:167]// 00000000548C: D3F300A4 0E933120
	v_mfma_f32_16x16x32_fp8_fp8 v[164:167], a[34:35], v[154:155], v[164:167]// 000000005494: D3F300A4 0E933522
	v_mfma_f32_16x16x32_fp8_fp8 v[168:171], a[36:37], v[136:137], v[168:171]// 00000000549C: D3F300A8 0EA31124
	v_mfma_f32_16x16x32_fp8_fp8 v[168:171], a[38:39], v[138:139], v[168:171]// 0000000054A4: D3F300A8 0EA31526
	buffer_load_dwordx4 a[100:103], v37, s[12:15], 0 offen     // 0000000054AC: E05C1000 80836425
	v_mfma_f32_16x16x32_fp8_fp8 v[172:175], a[36:37], v[152:153], v[172:175]// 0000000054B4: D3F300AC 0EB33124
	v_mfma_f32_16x16x32_fp8_fp8 v[172:175], a[38:39], v[154:155], v[172:175]// 0000000054BC: D3F300AC 0EB33526
	v_mfma_f32_16x16x32_fp8_fp8 v[176:179], a[40:41], v[136:137], v[176:179]// 0000000054C4: D3F300B0 0EC31128
	v_mfma_f32_16x16x32_fp8_fp8 v[176:179], a[42:43], v[138:139], v[176:179]// 0000000054CC: D3F300B0 0EC3152A
	buffer_load_dwordx4 a[104:107], v38, s[12:15], 0 offen     // 0000000054D4: E05C1000 80836826
	v_mfma_f32_16x16x32_fp8_fp8 v[180:183], a[40:41], v[152:153], v[180:183]// 0000000054DC: D3F300B4 0ED33128
	v_mfma_f32_16x16x32_fp8_fp8 v[180:183], a[42:43], v[154:155], v[180:183]// 0000000054E4: D3F300B4 0ED3352A
	v_mfma_f32_16x16x32_fp8_fp8 v[184:187], a[44:45], v[136:137], v[184:187]// 0000000054EC: D3F300B8 0EE3112C
	v_mfma_f32_16x16x32_fp8_fp8 v[184:187], a[46:47], v[138:139], v[184:187]// 0000000054F4: D3F300B8 0EE3152E
	buffer_load_dwordx4 a[108:111], v39, s[12:15], 0 offen     // 0000000054FC: E05C1000 80836C27
	s_add_u32 s12, s78, s12                                    // 000000005504: 800C0C4E
	s_addc_u32 s13, 0, s13                                     // 000000005508: 820D0D80
	v_mfma_f32_16x16x32_fp8_fp8 v[188:191], a[44:45], v[152:153], v[188:191]// 00000000550C: D3F300BC 0EF3312C
	v_mfma_f32_16x16x32_fp8_fp8 v[188:191], a[46:47], v[154:155], v[188:191]// 000000005514: D3F300BC 0EF3352E
	s_waitcnt vmcnt(28)                                        // 00000000551C: BF8C4F7C
	v_mfma_f32_16x16x32_fp8_fp8 v[160:163], a[48:49], v[140:141], v[160:163]// 000000005520: D3F300A0 0E831930
	v_mfma_f32_16x16x32_fp8_fp8 v[160:163], a[50:51], v[142:143], v[160:163]// 000000005528: D3F300A0 0E831D32
	buffer_load_dwordx4 a[112:115], v36, s[12:15], 0 offen     // 000000005530: E05C1000 80837024
	v_mfma_f32_16x16x32_fp8_fp8 v[164:167], a[48:49], v[156:157], v[164:167]// 000000005538: D3F300A4 0E933930
	v_mfma_f32_16x16x32_fp8_fp8 v[164:167], a[50:51], v[158:159], v[164:167]// 000000005540: D3F300A4 0E933D32
	buffer_load_dword v12, v5, s[16:19], 0 offen               // 000000005548: E0501000 80040C05
	v_mfma_f32_16x16x32_fp8_fp8 v[168:171], a[52:53], v[140:141], v[168:171]// 000000005550: D3F300A8 0EA31934
	v_mfma_f32_16x16x32_fp8_fp8 v[168:171], a[54:55], v[142:143], v[168:171]// 000000005558: D3F300A8 0EA31D36
	buffer_load_dwordx4 a[116:119], v37, s[12:15], 0 offen     // 000000005560: E05C1000 80837425
	v_mfma_f32_16x16x32_fp8_fp8 v[172:175], a[52:53], v[156:157], v[172:175]// 000000005568: D3F300AC 0EB33934
	v_mfma_f32_16x16x32_fp8_fp8 v[172:175], a[54:55], v[158:159], v[172:175]// 000000005570: D3F300AC 0EB33D36
	v_mfma_f32_16x16x32_fp8_fp8 v[176:179], a[56:57], v[140:141], v[176:179]// 000000005578: D3F300B0 0EC31938
	v_mfma_f32_16x16x32_fp8_fp8 v[176:179], a[58:59], v[142:143], v[176:179]// 000000005580: D3F300B0 0EC31D3A
	buffer_load_dwordx4 a[120:123], v38, s[12:15], 0 offen     // 000000005588: E05C1000 80837826
	v_mfma_f32_16x16x32_fp8_fp8 v[180:183], a[56:57], v[156:157], v[180:183]// 000000005590: D3F300B4 0ED33938
	v_mfma_f32_16x16x32_fp8_fp8 v[180:183], a[58:59], v[158:159], v[180:183]// 000000005598: D3F300B4 0ED33D3A
	v_mfma_f32_16x16x32_fp8_fp8 v[184:187], a[60:61], v[140:141], v[184:187]// 0000000055A0: D3F300B8 0EE3193C
	v_mfma_f32_16x16x32_fp8_fp8 v[184:187], a[62:63], v[142:143], v[184:187]// 0000000055A8: D3F300B8 0EE31D3E
	buffer_load_dwordx4 a[124:127], v39, s[12:15], 0 offen     // 0000000055B0: E05C1000 80837C27
	v_mfma_f32_16x16x32_fp8_fp8 v[188:191], a[60:61], v[156:157], v[188:191]// 0000000055B8: D3F300BC 0EF3393C
	v_mfma_f32_16x16x32_fp8_fp8 v[188:191], a[62:63], v[158:159], v[188:191]// 0000000055C0: D3F300BC 0EF33D3E
	s_add_u32 s60, 0x200, s80                                  // 0000000055C8: 803C50FF 00000200
	s_cmp_lt_u32 s60, s81                                      // 0000000055D0: BF0A513C
	s_cselect_b32 s56, s56, 0                                  // 0000000055D4: 85388038
	s_cselect_b32 s78, s78, 0                                  // 0000000055D8: 854E804E
	s_cselect_b32 s79, s79, 0                                  // 0000000055DC: 854F804F
	s_add_u32 s12, s56, s12                                    // 0000000055E0: 800C0C38
	s_addc_u32 s13, 0, s13                                     // 0000000055E4: 820D0D80
	s_add_u32 s16, s79, s16                                    // 0000000055E8: 8010104F
	s_addc_u32 s17, 0, s17                                     // 0000000055EC: 82111180
	v_mul_f32_e32 v160, v22, v160                              // 0000000055F0: 0B414116
	v_mul_f32_e32 v161, v22, v161                              // 0000000055F4: 0B434316
	v_mul_f32_e32 v162, v22, v162                              // 0000000055F8: 0B454516
	v_mul_f32_e32 v163, v22, v163                              // 0000000055FC: 0B474716
	v_mul_f32_dpp v160, v11, v160 row_newbcast:0 row_mask:0xf bank_mask:0xf// 000000005600: 0B4140FA FF01500B
	v_mul_f32_dpp v161, v11, v161 row_newbcast:1 row_mask:0xf bank_mask:0xf// 000000005608: 0B4342FA FF01510B
	v_mul_f32_dpp v162, v11, v162 row_newbcast:2 row_mask:0xf bank_mask:0xf// 000000005610: 0B4544FA FF01520B
	v_mul_f32_dpp v163, v11, v163 row_newbcast:3 row_mask:0xf bank_mask:0xf// 000000005618: 0B4746FA FF01530B
	v_mul_f32_e32 v160, v17, v160                              // 000000005620: 0B414111
	v_mul_f32_e32 v161, v17, v161                              // 000000005624: 0B434311
	v_mul_f32_e32 v162, v17, v162                              // 000000005628: 0B454511
	v_mul_f32_e32 v163, v17, v163                              // 00000000562C: 0B474711
	v_mul_f32_e32 v164, v23, v164                              // 000000005630: 0B494917
	v_mul_f32_e32 v165, v23, v165                              // 000000005634: 0B4B4B17
	v_mul_f32_e32 v166, v23, v166                              // 000000005638: 0B4D4D17
	v_mul_f32_e32 v167, v23, v167                              // 00000000563C: 0B4F4F17
	v_mul_f32_dpp v164, v11, v164 row_newbcast:0 row_mask:0xf bank_mask:0xf// 000000005640: 0B4948FA FF01500B
	v_mul_f32_dpp v165, v11, v165 row_newbcast:1 row_mask:0xf bank_mask:0xf// 000000005648: 0B4B4AFA FF01510B
	v_mul_f32_dpp v166, v11, v166 row_newbcast:2 row_mask:0xf bank_mask:0xf// 000000005650: 0B4D4CFA FF01520B
	v_mul_f32_dpp v167, v11, v167 row_newbcast:3 row_mask:0xf bank_mask:0xf// 000000005658: 0B4F4EFA FF01530B
	v_mul_f32_e32 v164, v18, v164                              // 000000005660: 0B494912
	v_mul_f32_e32 v165, v18, v165                              // 000000005664: 0B4B4B12
	v_mul_f32_e32 v166, v18, v166                              // 000000005668: 0B4D4D12
	v_mul_f32_e32 v167, v18, v167                              // 00000000566C: 0B4F4F12
	v_mul_f32_e32 v168, v22, v168                              // 000000005670: 0B515116
	v_mul_f32_e32 v169, v22, v169                              // 000000005674: 0B535316
	v_mul_f32_e32 v170, v22, v170                              // 000000005678: 0B555516
	v_mul_f32_e32 v171, v22, v171                              // 00000000567C: 0B575716
	v_mul_f32_dpp v168, v11, v168 row_newbcast:4 row_mask:0xf bank_mask:0xf// 000000005680: 0B5150FA FF01540B
	v_mul_f32_dpp v169, v11, v169 row_newbcast:5 row_mask:0xf bank_mask:0xf// 000000005688: 0B5352FA FF01550B
	v_mul_f32_dpp v170, v11, v170 row_newbcast:6 row_mask:0xf bank_mask:0xf// 000000005690: 0B5554FA FF01560B
	v_mul_f32_dpp v171, v11, v171 row_newbcast:7 row_mask:0xf bank_mask:0xf// 000000005698: 0B5756FA FF01570B
	v_mul_f32_e32 v168, v17, v168                              // 0000000056A0: 0B515111
	v_mul_f32_e32 v169, v17, v169                              // 0000000056A4: 0B535311
	v_mul_f32_e32 v170, v17, v170                              // 0000000056A8: 0B555511
	v_mul_f32_e32 v171, v17, v171                              // 0000000056AC: 0B575711
	v_mul_f32_e32 v172, v23, v172                              // 0000000056B0: 0B595917
	v_mul_f32_e32 v173, v23, v173                              // 0000000056B4: 0B5B5B17
	v_mul_f32_e32 v174, v23, v174                              // 0000000056B8: 0B5D5D17
	v_mul_f32_e32 v175, v23, v175                              // 0000000056BC: 0B5F5F17
	v_mul_f32_dpp v172, v11, v172 row_newbcast:4 row_mask:0xf bank_mask:0xf// 0000000056C0: 0B5958FA FF01540B
	v_mul_f32_dpp v173, v11, v173 row_newbcast:5 row_mask:0xf bank_mask:0xf// 0000000056C8: 0B5B5AFA FF01550B
	v_mul_f32_dpp v174, v11, v174 row_newbcast:6 row_mask:0xf bank_mask:0xf// 0000000056D0: 0B5D5CFA FF01560B
	v_mul_f32_dpp v175, v11, v175 row_newbcast:7 row_mask:0xf bank_mask:0xf// 0000000056D8: 0B5F5EFA FF01570B
	v_mul_f32_e32 v172, v18, v172                              // 0000000056E0: 0B595912
	v_mul_f32_e32 v173, v18, v173                              // 0000000056E4: 0B5B5B12
	v_mul_f32_e32 v174, v18, v174                              // 0000000056E8: 0B5D5D12
	v_mul_f32_e32 v175, v18, v175                              // 0000000056EC: 0B5F5F12
	v_mul_f32_e32 v176, v22, v176                              // 0000000056F0: 0B616116
	v_mul_f32_e32 v177, v22, v177                              // 0000000056F4: 0B636316
	v_mul_f32_e32 v178, v22, v178                              // 0000000056F8: 0B656516
	v_mul_f32_e32 v179, v22, v179                              // 0000000056FC: 0B676716
	v_mul_f32_dpp v176, v11, v176 row_newbcast:8 row_mask:0xf bank_mask:0xf// 000000005700: 0B6160FA FF01580B
	v_mul_f32_dpp v177, v11, v177 row_newbcast:9 row_mask:0xf bank_mask:0xf// 000000005708: 0B6362FA FF01590B
	v_mul_f32_dpp v178, v11, v178 row_newbcast:10 row_mask:0xf bank_mask:0xf// 000000005710: 0B6564FA FF015A0B
	v_mul_f32_dpp v179, v11, v179 row_newbcast:11 row_mask:0xf bank_mask:0xf// 000000005718: 0B6766FA FF015B0B
	v_mul_f32_e32 v176, v17, v176                              // 000000005720: 0B616111
	v_mul_f32_e32 v177, v17, v177                              // 000000005724: 0B636311
	v_mul_f32_e32 v178, v17, v178                              // 000000005728: 0B656511
	v_mul_f32_e32 v179, v17, v179                              // 00000000572C: 0B676711
	v_mul_f32_e32 v180, v23, v180                              // 000000005730: 0B696917
	v_mul_f32_e32 v181, v23, v181                              // 000000005734: 0B6B6B17
	v_mul_f32_e32 v182, v23, v182                              // 000000005738: 0B6D6D17
	v_mul_f32_e32 v183, v23, v183                              // 00000000573C: 0B6F6F17
	v_mul_f32_dpp v180, v11, v180 row_newbcast:8 row_mask:0xf bank_mask:0xf// 000000005740: 0B6968FA FF01580B
	v_mul_f32_dpp v181, v11, v181 row_newbcast:9 row_mask:0xf bank_mask:0xf// 000000005748: 0B6B6AFA FF01590B
	v_mul_f32_dpp v182, v11, v182 row_newbcast:10 row_mask:0xf bank_mask:0xf// 000000005750: 0B6D6CFA FF015A0B
	v_mul_f32_dpp v183, v11, v183 row_newbcast:11 row_mask:0xf bank_mask:0xf// 000000005758: 0B6F6EFA FF015B0B
	v_mul_f32_e32 v180, v18, v180                              // 000000005760: 0B696912
	v_mul_f32_e32 v181, v18, v181                              // 000000005764: 0B6B6B12
	v_mul_f32_e32 v182, v18, v182                              // 000000005768: 0B6D6D12
	v_mul_f32_e32 v183, v18, v183                              // 00000000576C: 0B6F6F12
	v_mul_f32_e32 v184, v22, v184                              // 000000005770: 0B717116
	v_mul_f32_e32 v185, v22, v185                              // 000000005774: 0B737316
	v_mul_f32_e32 v186, v22, v186                              // 000000005778: 0B757516
	v_mul_f32_e32 v187, v22, v187                              // 00000000577C: 0B777716
	v_mul_f32_dpp v184, v11, v184 row_newbcast:12 row_mask:0xf bank_mask:0xf// 000000005780: 0B7170FA FF015C0B
	v_mul_f32_dpp v185, v11, v185 row_newbcast:13 row_mask:0xf bank_mask:0xf// 000000005788: 0B7372FA FF015D0B
	v_mul_f32_dpp v186, v11, v186 row_newbcast:14 row_mask:0xf bank_mask:0xf// 000000005790: 0B7574FA FF015E0B
	v_mul_f32_dpp v187, v11, v187 row_newbcast:15 row_mask:0xf bank_mask:0xf// 000000005798: 0B7776FA FF015F0B
	v_mul_f32_e32 v184, v17, v184                              // 0000000057A0: 0B717111
	v_mul_f32_e32 v185, v17, v185                              // 0000000057A4: 0B737311
	v_mul_f32_e32 v186, v17, v186                              // 0000000057A8: 0B757511
	v_mul_f32_e32 v187, v17, v187                              // 0000000057AC: 0B777711
	v_mul_f32_e32 v188, v23, v188                              // 0000000057B0: 0B797917
	v_mul_f32_e32 v189, v23, v189                              // 0000000057B4: 0B7B7B17
	v_mul_f32_e32 v190, v23, v190                              // 0000000057B8: 0B7D7D17
	v_mul_f32_e32 v191, v23, v191                              // 0000000057BC: 0B7F7F17
	v_mul_f32_dpp v188, v11, v188 row_newbcast:12 row_mask:0xf bank_mask:0xf// 0000000057C0: 0B7978FA FF015C0B
	v_mul_f32_dpp v189, v11, v189 row_newbcast:13 row_mask:0xf bank_mask:0xf// 0000000057C8: 0B7B7AFA FF015D0B
	v_mul_f32_dpp v190, v11, v190 row_newbcast:14 row_mask:0xf bank_mask:0xf// 0000000057D0: 0B7D7CFA FF015E0B
	v_mul_f32_dpp v191, v11, v191 row_newbcast:15 row_mask:0xf bank_mask:0xf// 0000000057D8: 0B7F7EFA FF015F0B
	v_mul_f32_e32 v188, v18, v188                              // 0000000057E0: 0B797912
	v_mul_f32_e32 v189, v18, v189                              // 0000000057E4: 0B7B7B12
	v_mul_f32_e32 v190, v18, v190                              // 0000000057E8: 0B7D7D12
	v_mul_f32_e32 v191, v18, v191                              // 0000000057EC: 0B7F7F12
	v_cvt_pkrtz_f16_f32 v160, v160, v161                       // 0000000057F0: D29600A0 000343A0
	v_cvt_pkrtz_f16_f32 v161, v162, v163                       // 0000000057F8: D29600A1 000347A2
	v_cvt_pkrtz_f16_f32 v162, v164, v165                       // 000000005800: D29600A2 00034BA4
	v_cvt_pkrtz_f16_f32 v163, v166, v167                       // 000000005808: D29600A3 00034FA6
	v_cvt_pkrtz_f16_f32 v164, v168, v169                       // 000000005810: D29600A4 000353A8
	v_cvt_pkrtz_f16_f32 v165, v170, v171                       // 000000005818: D29600A5 000357AA
	v_cvt_pkrtz_f16_f32 v166, v172, v173                       // 000000005820: D29600A6 00035BAC
	v_cvt_pkrtz_f16_f32 v167, v174, v175                       // 000000005828: D29600A7 00035FAE
	v_cvt_pkrtz_f16_f32 v168, v176, v177                       // 000000005830: D29600A8 000363B0
	v_cvt_pkrtz_f16_f32 v169, v178, v179                       // 000000005838: D29600A9 000367B2
	v_cvt_pkrtz_f16_f32 v170, v180, v181                       // 000000005840: D29600AA 00036BB4
	v_cvt_pkrtz_f16_f32 v171, v182, v183                       // 000000005848: D29600AB 00036FB6
	v_cvt_pkrtz_f16_f32 v172, v184, v185                       // 000000005850: D29600AC 000373B8
	v_cvt_pkrtz_f16_f32 v173, v186, v187                       // 000000005858: D29600AD 000377BA
	v_cvt_pkrtz_f16_f32 v174, v188, v189                       // 000000005860: D29600AE 00037BBC
	v_cvt_pkrtz_f16_f32 v175, v190, v191                       // 000000005868: D29600AF 00037FBE
	ds_write_b64 v3, v[160:161] offset:26880                   // 000000005870: D89A6900 0000A003
	ds_write_b64 v3, v[162:163] offset:35584                   // 000000005878: D89A8B00 0000A203
	ds_write_b64 v3, v[164:165] offset:29056                   // 000000005880: D89A7180 0000A403
	ds_write_b64 v3, v[166:167] offset:37760                   // 000000005888: D89A9380 0000A603
	ds_write_b64 v3, v[168:169] offset:31232                   // 000000005890: D89A7A00 0000A803
	ds_write_b64 v3, v[170:171] offset:39936                   // 000000005898: D89A9C00 0000AA03
	ds_write_b64 v3, v[172:173] offset:33408                   // 0000000058A0: D89A8280 0000AC03
	ds_write_b64 v3, v[174:175] offset:42112                   // 0000000058A8: D89AA480 0000AE03
	s_waitcnt lgkmcnt(0)                                       // 0000000058B0: BF8CC07F
	s_barrier                                                  // 0000000058B4: BF8A0000
	ds_read_b32 v64, v4 offset:26880                           // 0000000058B8: D86C6900 40000004
	ds_read_b32 v65, v4 offset:31232                           // 0000000058C0: D86C7A00 41000004
	ds_read_b32 v66, v4 offset:26912                           // 0000000058C8: D86C6920 42000004
	ds_read_b32 v67, v4 offset:31264                           // 0000000058D0: D86C7A20 43000004
	ds_read_b32 v68, v4 offset:26944                           // 0000000058D8: D86C6940 44000004
	ds_read_b32 v69, v4 offset:31296                           // 0000000058E0: D86C7A40 45000004
	ds_read_b32 v70, v4 offset:26976                           // 0000000058E8: D86C6960 46000004
	ds_read_b32 v71, v4 offset:31328                           // 0000000058F0: D86C7A60 47000004
	ds_read_b32 v72, v4 offset:35584                           // 0000000058F8: D86C8B00 48000004
	ds_read_b32 v73, v4 offset:39936                           // 000000005900: D86C9C00 49000004
	ds_read_b32 v74, v4 offset:35616                           // 000000005908: D86C8B20 4A000004
	ds_read_b32 v75, v4 offset:39968                           // 000000005910: D86C9C20 4B000004
	ds_read_b32 v76, v4 offset:35648                           // 000000005918: D86C8B40 4C000004
	ds_read_b32 v77, v4 offset:40000                           // 000000005920: D86C9C40 4D000004
	ds_read_b32 v78, v4 offset:35680                           // 000000005928: D86C8B60 4E000004
	ds_read_b32 v79, v4 offset:40032                           // 000000005930: D86C9C60 4F000004
	s_waitcnt lgkmcnt(0)                                       // 000000005938: BF8CC07F
	s_mov_b64 exec, s[20:21]                                   // 00000000593C: BEFE0114
	global_atomic_pk_add_f16 v80, v64, s[8:9]                  // 000000005940: DD388000 00084050
	s_mov_b64 exec, s[36:37]                                   // 000000005948: BEFE0124
	s_mov_b64 exec, s[20:21]                                   // 00000000594C: BEFE0114
	global_atomic_pk_add_f16 v80, v65, s[8:9] offset:256       // 000000005950: DD388100 00084150
	s_mov_b64 exec, s[36:37]                                   // 000000005958: BEFE0124
	s_mov_b64 exec, s[22:23]                                   // 00000000595C: BEFE0116
	global_atomic_pk_add_f16 v82, v66, s[8:9]                  // 000000005960: DD388000 00084252
	s_mov_b64 exec, s[36:37]                                   // 000000005968: BEFE0124
	s_mov_b64 exec, s[22:23]                                   // 00000000596C: BEFE0116
	global_atomic_pk_add_f16 v82, v67, s[8:9] offset:256       // 000000005970: DD388100 00084352
	s_mov_b64 exec, s[36:37]                                   // 000000005978: BEFE0124
	s_mov_b64 exec, s[24:25]                                   // 00000000597C: BEFE0118
	global_atomic_pk_add_f16 v84, v68, s[8:9]                  // 000000005980: DD388000 00084454
	s_mov_b64 exec, s[36:37]                                   // 000000005988: BEFE0124
	s_mov_b64 exec, s[24:25]                                   // 00000000598C: BEFE0118
	global_atomic_pk_add_f16 v84, v69, s[8:9] offset:256       // 000000005990: DD388100 00084554
	s_mov_b64 exec, s[36:37]                                   // 000000005998: BEFE0124
	s_mov_b64 exec, s[26:27]                                   // 00000000599C: BEFE011A
	global_atomic_pk_add_f16 v86, v70, s[8:9]                  // 0000000059A0: DD388000 00084656
	s_mov_b64 exec, s[36:37]                                   // 0000000059A8: BEFE0124
	s_mov_b64 exec, s[26:27]                                   // 0000000059AC: BEFE011A
	global_atomic_pk_add_f16 v86, v71, s[8:9] offset:256       // 0000000059B0: DD388100 00084756
	s_mov_b64 exec, s[36:37]                                   // 0000000059B8: BEFE0124
	s_mov_b64 exec, s[28:29]                                   // 0000000059BC: BEFE011C
	global_atomic_pk_add_f16 v88, v72, s[8:9]                  // 0000000059C0: DD388000 00084858
	s_mov_b64 exec, s[36:37]                                   // 0000000059C8: BEFE0124
	s_mov_b64 exec, s[28:29]                                   // 0000000059CC: BEFE011C
	global_atomic_pk_add_f16 v88, v73, s[8:9] offset:256       // 0000000059D0: DD388100 00084958
	s_mov_b64 exec, s[36:37]                                   // 0000000059D8: BEFE0124
	s_mov_b64 exec, s[30:31]                                   // 0000000059DC: BEFE011E
	global_atomic_pk_add_f16 v90, v74, s[8:9]                  // 0000000059E0: DD388000 00084A5A
	s_mov_b64 exec, s[36:37]                                   // 0000000059E8: BEFE0124
	s_mov_b64 exec, s[30:31]                                   // 0000000059EC: BEFE011E
	global_atomic_pk_add_f16 v90, v75, s[8:9] offset:256       // 0000000059F0: DD388100 00084B5A
	s_mov_b64 exec, s[36:37]                                   // 0000000059F8: BEFE0124
	s_mov_b64 exec, s[32:33]                                   // 0000000059FC: BEFE0120
	global_atomic_pk_add_f16 v92, v76, s[8:9]                  // 000000005A00: DD388000 00084C5C
	s_mov_b64 exec, s[36:37]                                   // 000000005A08: BEFE0124
	s_mov_b64 exec, s[32:33]                                   // 000000005A0C: BEFE0120
	global_atomic_pk_add_f16 v92, v77, s[8:9] offset:256       // 000000005A10: DD388100 00084D5C
	s_mov_b64 exec, s[36:37]                                   // 000000005A18: BEFE0124
	s_mov_b64 exec, s[34:35]                                   // 000000005A1C: BEFE0122
	global_atomic_pk_add_f16 v94, v78, s[8:9]                  // 000000005A20: DD388000 00084E5E
	s_mov_b64 exec, s[36:37]                                   // 000000005A28: BEFE0124
	s_mov_b64 exec, s[34:35]                                   // 000000005A2C: BEFE0122
	global_atomic_pk_add_f16 v94, v79, s[8:9] offset:256       // 000000005A30: DD388100 00084F5E
	s_mov_b64 exec, s[36:37]                                   // 000000005A38: BEFE0124
	s_add_u32 s8, s59, s8                                      // 000000005A3C: 8008083B
	s_addc_u32 s9, 0, s9                                       // 000000005A40: 82090980
	s_addk_i32 s80, 0x100                                      // 000000005A44: B7500100
	s_cmp_lt_i32 s80, s81                                      // 000000005A48: BF045150
	s_cbranch_scc0 label_0CE4                                  // 000000005A4C: BF8401D0
	s_waitcnt vmcnt(29)                                        // 000000005A50: BF8C4F7D
	s_barrier                                                  // 000000005A54: BF8A0000
	v_mfma_f32_16x16x32_fp8_fp8 v[192:195], a[64:65], v[128:129], 0// 000000005A58: D3F300C0 0A030140
	v_mfma_f32_16x16x32_fp8_fp8 v[192:195], a[66:67], v[130:131], v[192:195]// 000000005A60: D3F300C0 0F030542
	buffer_load_dwordx4 a[0:3], v36, s[12:15], 0 offen         // 000000005A68: E05C1000 80830024
	v_mfma_f32_16x16x32_fp8_fp8 v[196:199], a[64:65], v[144:145], 0// 000000005A70: D3F300C4 0A032140
	v_mfma_f32_16x16x32_fp8_fp8 v[196:199], a[66:67], v[146:147], v[196:199]// 000000005A78: D3F300C4 0F132542
	v_mfma_f32_16x16x32_fp8_fp8 v[200:203], a[68:69], v[128:129], 0// 000000005A80: D3F300C8 0A030144
	v_mfma_f32_16x16x32_fp8_fp8 v[200:203], a[70:71], v[130:131], v[200:203]// 000000005A88: D3F300C8 0F230546
	buffer_load_dwordx4 a[4:7], v37, s[12:15], 0 offen         // 000000005A90: E05C1000 80830425
	v_mfma_f32_16x16x32_fp8_fp8 v[204:207], a[68:69], v[144:145], 0// 000000005A98: D3F300CC 0A032144
	v_mfma_f32_16x16x32_fp8_fp8 v[204:207], a[70:71], v[146:147], v[204:207]// 000000005AA0: D3F300CC 0F332546
	v_mfma_f32_16x16x32_fp8_fp8 v[208:211], a[72:73], v[128:129], 0// 000000005AA8: D3F300D0 0A030148
	v_mfma_f32_16x16x32_fp8_fp8 v[208:211], a[74:75], v[130:131], v[208:211]// 000000005AB0: D3F300D0 0F43054A
	buffer_load_dwordx4 a[8:11], v38, s[12:15], 0 offen        // 000000005AB8: E05C1000 80830826
	v_mfma_f32_16x16x32_fp8_fp8 v[212:215], a[72:73], v[144:145], 0// 000000005AC0: D3F300D4 0A032148
	v_mfma_f32_16x16x32_fp8_fp8 v[212:215], a[74:75], v[146:147], v[212:215]// 000000005AC8: D3F300D4 0F53254A
	v_mfma_f32_16x16x32_fp8_fp8 v[216:219], a[76:77], v[128:129], 0// 000000005AD0: D3F300D8 0A03014C
	v_mfma_f32_16x16x32_fp8_fp8 v[216:219], a[78:79], v[130:131], v[216:219]// 000000005AD8: D3F300D8 0F63054E
	buffer_load_dwordx4 a[12:15], v39, s[12:15], 0 offen       // 000000005AE0: E05C1000 80830C27
	s_add_u32 s12, s78, s12                                    // 000000005AE8: 800C0C4E
	s_addc_u32 s13, 0, s13                                     // 000000005AEC: 820D0D80
	v_mfma_f32_16x16x32_fp8_fp8 v[220:223], a[76:77], v[144:145], 0// 000000005AF0: D3F300DC 0A03214C
	v_mfma_f32_16x16x32_fp8_fp8 v[220:223], a[78:79], v[146:147], v[220:223]// 000000005AF8: D3F300DC 0F73254E
	s_waitcnt vmcnt(29)                                        // 000000005B00: BF8C4F7D
	v_mfma_f32_16x16x32_fp8_fp8 v[192:195], a[80:81], v[132:133], v[192:195]// 000000005B04: D3F300C0 0F030950
	v_mfma_f32_16x16x32_fp8_fp8 v[192:195], a[82:83], v[134:135], v[192:195]// 000000005B0C: D3F300C0 0F030D52
	buffer_load_dwordx4 a[16:19], v36, s[12:15], 0 offen       // 000000005B14: E05C1000 80831024
	v_mfma_f32_16x16x32_fp8_fp8 v[196:199], a[80:81], v[148:149], v[196:199]// 000000005B1C: D3F300C4 0F132950
	v_mfma_f32_16x16x32_fp8_fp8 v[196:199], a[82:83], v[150:151], v[196:199]// 000000005B24: D3F300C4 0F132D52
	v_mfma_f32_16x16x32_fp8_fp8 v[200:203], a[84:85], v[132:133], v[200:203]// 000000005B2C: D3F300C8 0F230954
	v_mfma_f32_16x16x32_fp8_fp8 v[200:203], a[86:87], v[134:135], v[200:203]// 000000005B34: D3F300C8 0F230D56
	buffer_load_dwordx4 a[20:23], v37, s[12:15], 0 offen       // 000000005B3C: E05C1000 80831425
	v_mfma_f32_16x16x32_fp8_fp8 v[204:207], a[84:85], v[148:149], v[204:207]// 000000005B44: D3F300CC 0F332954
	v_mfma_f32_16x16x32_fp8_fp8 v[204:207], a[86:87], v[150:151], v[204:207]// 000000005B4C: D3F300CC 0F332D56
	v_mfma_f32_16x16x32_fp8_fp8 v[208:211], a[88:89], v[132:133], v[208:211]// 000000005B54: D3F300D0 0F430958
	v_mfma_f32_16x16x32_fp8_fp8 v[208:211], a[90:91], v[134:135], v[208:211]// 000000005B5C: D3F300D0 0F430D5A
	buffer_load_dwordx4 a[24:27], v38, s[12:15], 0 offen       // 000000005B64: E05C1000 80831826
	v_mfma_f32_16x16x32_fp8_fp8 v[212:215], a[88:89], v[148:149], v[212:215]// 000000005B6C: D3F300D4 0F532958
	v_mfma_f32_16x16x32_fp8_fp8 v[212:215], a[90:91], v[150:151], v[212:215]// 000000005B74: D3F300D4 0F532D5A
	v_mfma_f32_16x16x32_fp8_fp8 v[216:219], a[92:93], v[132:133], v[216:219]// 000000005B7C: D3F300D8 0F63095C
	v_mfma_f32_16x16x32_fp8_fp8 v[216:219], a[94:95], v[134:135], v[216:219]// 000000005B84: D3F300D8 0F630D5E
	buffer_load_dwordx4 a[28:31], v39, s[12:15], 0 offen       // 000000005B8C: E05C1000 80831C27
	s_add_u32 s12, s78, s12                                    // 000000005B94: 800C0C4E
	s_addc_u32 s13, 0, s13                                     // 000000005B98: 820D0D80
	v_mfma_f32_16x16x32_fp8_fp8 v[220:223], a[92:93], v[148:149], v[220:223]// 000000005B9C: D3F300DC 0F73295C
	v_mfma_f32_16x16x32_fp8_fp8 v[220:223], a[94:95], v[150:151], v[220:223]// 000000005BA4: D3F300DC 0F732D5E
	s_waitcnt vmcnt(29)                                        // 000000005BAC: BF8C4F7D
	v_mfma_f32_16x16x32_fp8_fp8 v[192:195], a[96:97], v[136:137], v[192:195]// 000000005BB0: D3F300C0 0F031160
	v_mfma_f32_16x16x32_fp8_fp8 v[192:195], a[98:99], v[138:139], v[192:195]// 000000005BB8: D3F300C0 0F031562
	buffer_load_dwordx4 a[32:35], v36, s[12:15], 0 offen       // 000000005BC0: E05C1000 80832024
	v_mfma_f32_16x16x32_fp8_fp8 v[196:199], a[96:97], v[152:153], v[196:199]// 000000005BC8: D3F300C4 0F133160
	v_mfma_f32_16x16x32_fp8_fp8 v[196:199], a[98:99], v[154:155], v[196:199]// 000000005BD0: D3F300C4 0F133562
	v_mfma_f32_16x16x32_fp8_fp8 v[200:203], a[100:101], v[136:137], v[200:203]// 000000005BD8: D3F300C8 0F231164
	v_mfma_f32_16x16x32_fp8_fp8 v[200:203], a[102:103], v[138:139], v[200:203]// 000000005BE0: D3F300C8 0F231566
	buffer_load_dwordx4 a[36:39], v37, s[12:15], 0 offen       // 000000005BE8: E05C1000 80832425
	v_mfma_f32_16x16x32_fp8_fp8 v[204:207], a[100:101], v[152:153], v[204:207]// 000000005BF0: D3F300CC 0F333164
	v_mfma_f32_16x16x32_fp8_fp8 v[204:207], a[102:103], v[154:155], v[204:207]// 000000005BF8: D3F300CC 0F333566
	v_mfma_f32_16x16x32_fp8_fp8 v[208:211], a[104:105], v[136:137], v[208:211]// 000000005C00: D3F300D0 0F431168
	v_mfma_f32_16x16x32_fp8_fp8 v[208:211], a[106:107], v[138:139], v[208:211]// 000000005C08: D3F300D0 0F43156A
	buffer_load_dwordx4 a[40:43], v38, s[12:15], 0 offen       // 000000005C10: E05C1000 80832826
	v_mfma_f32_16x16x32_fp8_fp8 v[212:215], a[104:105], v[152:153], v[212:215]// 000000005C18: D3F300D4 0F533168
	v_mfma_f32_16x16x32_fp8_fp8 v[212:215], a[106:107], v[154:155], v[212:215]// 000000005C20: D3F300D4 0F53356A
	v_mfma_f32_16x16x32_fp8_fp8 v[216:219], a[108:109], v[136:137], v[216:219]// 000000005C28: D3F300D8 0F63116C
	v_mfma_f32_16x16x32_fp8_fp8 v[216:219], a[110:111], v[138:139], v[216:219]// 000000005C30: D3F300D8 0F63156E
	buffer_load_dwordx4 a[44:47], v39, s[12:15], 0 offen       // 000000005C38: E05C1000 80832C27
	s_add_u32 s12, s78, s12                                    // 000000005C40: 800C0C4E
	s_addc_u32 s13, 0, s13                                     // 000000005C44: 820D0D80
	v_mfma_f32_16x16x32_fp8_fp8 v[220:223], a[108:109], v[152:153], v[220:223]// 000000005C48: D3F300DC 0F73316C
	v_mfma_f32_16x16x32_fp8_fp8 v[220:223], a[110:111], v[154:155], v[220:223]// 000000005C50: D3F300DC 0F73356E
	s_waitcnt vmcnt(28)                                        // 000000005C58: BF8C4F7C
	v_mfma_f32_16x16x32_fp8_fp8 v[192:195], a[112:113], v[140:141], v[192:195]// 000000005C5C: D3F300C0 0F031970
	v_mfma_f32_16x16x32_fp8_fp8 v[192:195], a[114:115], v[142:143], v[192:195]// 000000005C64: D3F300C0 0F031D72
	buffer_load_dwordx4 a[48:51], v36, s[12:15], 0 offen       // 000000005C6C: E05C1000 80833024
	v_mfma_f32_16x16x32_fp8_fp8 v[196:199], a[112:113], v[156:157], v[196:199]// 000000005C74: D3F300C4 0F133970
	v_mfma_f32_16x16x32_fp8_fp8 v[196:199], a[114:115], v[158:159], v[196:199]// 000000005C7C: D3F300C4 0F133D72
	buffer_load_dword v11, v5, s[16:19], 0 offen               // 000000005C84: E0501000 80040B05
	v_mfma_f32_16x16x32_fp8_fp8 v[200:203], a[116:117], v[140:141], v[200:203]// 000000005C8C: D3F300C8 0F231974
	v_mfma_f32_16x16x32_fp8_fp8 v[200:203], a[118:119], v[142:143], v[200:203]// 000000005C94: D3F300C8 0F231D76
	buffer_load_dwordx4 a[52:55], v37, s[12:15], 0 offen       // 000000005C9C: E05C1000 80833425
	v_mfma_f32_16x16x32_fp8_fp8 v[204:207], a[116:117], v[156:157], v[204:207]// 000000005CA4: D3F300CC 0F333974
	v_mfma_f32_16x16x32_fp8_fp8 v[204:207], a[118:119], v[158:159], v[204:207]// 000000005CAC: D3F300CC 0F333D76
	v_mfma_f32_16x16x32_fp8_fp8 v[208:211], a[120:121], v[140:141], v[208:211]// 000000005CB4: D3F300D0 0F431978
	v_mfma_f32_16x16x32_fp8_fp8 v[208:211], a[122:123], v[142:143], v[208:211]// 000000005CBC: D3F300D0 0F431D7A
	buffer_load_dwordx4 a[56:59], v38, s[12:15], 0 offen       // 000000005CC4: E05C1000 80833826
	v_mfma_f32_16x16x32_fp8_fp8 v[212:215], a[120:121], v[156:157], v[212:215]// 000000005CCC: D3F300D4 0F533978
	v_mfma_f32_16x16x32_fp8_fp8 v[212:215], a[122:123], v[158:159], v[212:215]// 000000005CD4: D3F300D4 0F533D7A
	v_mfma_f32_16x16x32_fp8_fp8 v[216:219], a[124:125], v[140:141], v[216:219]// 000000005CDC: D3F300D8 0F63197C
	v_mfma_f32_16x16x32_fp8_fp8 v[216:219], a[126:127], v[142:143], v[216:219]// 000000005CE4: D3F300D8 0F631D7E
	buffer_load_dwordx4 a[60:63], v39, s[12:15], 0 offen       // 000000005CEC: E05C1000 80833C27
	v_mfma_f32_16x16x32_fp8_fp8 v[220:223], a[124:125], v[156:157], v[220:223]// 000000005CF4: D3F300DC 0F73397C
	v_mfma_f32_16x16x32_fp8_fp8 v[220:223], a[126:127], v[158:159], v[220:223]// 000000005CFC: D3F300DC 0F733D7E
	s_add_u32 s60, 0x200, s80                                  // 000000005D04: 803C50FF 00000200
	s_cmp_lt_u32 s60, s81                                      // 000000005D0C: BF0A513C
	s_cselect_b32 s56, s56, 0                                  // 000000005D10: 85388038
	s_cselect_b32 s78, s78, 0                                  // 000000005D14: 854E804E
	s_cselect_b32 s79, s79, 0                                  // 000000005D18: 854F804F
	s_add_u32 s12, s56, s12                                    // 000000005D1C: 800C0C38
	s_addc_u32 s13, 0, s13                                     // 000000005D20: 820D0D80
	s_add_u32 s16, s79, s16                                    // 000000005D24: 8010104F
	s_addc_u32 s17, 0, s17                                     // 000000005D28: 82111180
	v_mul_f32_e32 v192, v22, v192                              // 000000005D2C: 0B818116
	v_mul_f32_e32 v193, v22, v193                              // 000000005D30: 0B838316
	v_mul_f32_e32 v194, v22, v194                              // 000000005D34: 0B858516
	v_mul_f32_e32 v195, v22, v195                              // 000000005D38: 0B878716
	v_mul_f32_dpp v192, v12, v192 row_newbcast:0 row_mask:0xf bank_mask:0xf// 000000005D3C: 0B8180FA FF01500C
	v_mul_f32_dpp v193, v12, v193 row_newbcast:1 row_mask:0xf bank_mask:0xf// 000000005D44: 0B8382FA FF01510C
	v_mul_f32_dpp v194, v12, v194 row_newbcast:2 row_mask:0xf bank_mask:0xf// 000000005D4C: 0B8584FA FF01520C
	v_mul_f32_dpp v195, v12, v195 row_newbcast:3 row_mask:0xf bank_mask:0xf// 000000005D54: 0B8786FA FF01530C
	v_mul_f32_e32 v192, v17, v192                              // 000000005D5C: 0B818111
	v_mul_f32_e32 v193, v17, v193                              // 000000005D60: 0B838311
	v_mul_f32_e32 v194, v17, v194                              // 000000005D64: 0B858511
	v_mul_f32_e32 v195, v17, v195                              // 000000005D68: 0B878711
	v_mul_f32_e32 v196, v23, v196                              // 000000005D6C: 0B898917
	v_mul_f32_e32 v197, v23, v197                              // 000000005D70: 0B8B8B17
	v_mul_f32_e32 v198, v23, v198                              // 000000005D74: 0B8D8D17
	v_mul_f32_e32 v199, v23, v199                              // 000000005D78: 0B8F8F17
	v_mul_f32_dpp v196, v12, v196 row_newbcast:0 row_mask:0xf bank_mask:0xf// 000000005D7C: 0B8988FA FF01500C
	v_mul_f32_dpp v197, v12, v197 row_newbcast:1 row_mask:0xf bank_mask:0xf// 000000005D84: 0B8B8AFA FF01510C
	v_mul_f32_dpp v198, v12, v198 row_newbcast:2 row_mask:0xf bank_mask:0xf// 000000005D8C: 0B8D8CFA FF01520C
	v_mul_f32_dpp v199, v12, v199 row_newbcast:3 row_mask:0xf bank_mask:0xf// 000000005D94: 0B8F8EFA FF01530C
	v_mul_f32_e32 v196, v18, v196                              // 000000005D9C: 0B898912
	v_mul_f32_e32 v197, v18, v197                              // 000000005DA0: 0B8B8B12
	v_mul_f32_e32 v198, v18, v198                              // 000000005DA4: 0B8D8D12
	v_mul_f32_e32 v199, v18, v199                              // 000000005DA8: 0B8F8F12
	v_mul_f32_e32 v200, v22, v200                              // 000000005DAC: 0B919116
	v_mul_f32_e32 v201, v22, v201                              // 000000005DB0: 0B939316
	v_mul_f32_e32 v202, v22, v202                              // 000000005DB4: 0B959516
	v_mul_f32_e32 v203, v22, v203                              // 000000005DB8: 0B979716
	v_mul_f32_dpp v200, v12, v200 row_newbcast:4 row_mask:0xf bank_mask:0xf// 000000005DBC: 0B9190FA FF01540C
	v_mul_f32_dpp v201, v12, v201 row_newbcast:5 row_mask:0xf bank_mask:0xf// 000000005DC4: 0B9392FA FF01550C
	v_mul_f32_dpp v202, v12, v202 row_newbcast:6 row_mask:0xf bank_mask:0xf// 000000005DCC: 0B9594FA FF01560C
	v_mul_f32_dpp v203, v12, v203 row_newbcast:7 row_mask:0xf bank_mask:0xf// 000000005DD4: 0B9796FA FF01570C
	v_mul_f32_e32 v200, v17, v200                              // 000000005DDC: 0B919111
	v_mul_f32_e32 v201, v17, v201                              // 000000005DE0: 0B939311
	v_mul_f32_e32 v202, v17, v202                              // 000000005DE4: 0B959511
	v_mul_f32_e32 v203, v17, v203                              // 000000005DE8: 0B979711
	v_mul_f32_e32 v204, v23, v204                              // 000000005DEC: 0B999917
	v_mul_f32_e32 v205, v23, v205                              // 000000005DF0: 0B9B9B17
	v_mul_f32_e32 v206, v23, v206                              // 000000005DF4: 0B9D9D17
	v_mul_f32_e32 v207, v23, v207                              // 000000005DF8: 0B9F9F17
	v_mul_f32_dpp v204, v12, v204 row_newbcast:4 row_mask:0xf bank_mask:0xf// 000000005DFC: 0B9998FA FF01540C
	v_mul_f32_dpp v205, v12, v205 row_newbcast:5 row_mask:0xf bank_mask:0xf// 000000005E04: 0B9B9AFA FF01550C
	v_mul_f32_dpp v206, v12, v206 row_newbcast:6 row_mask:0xf bank_mask:0xf// 000000005E0C: 0B9D9CFA FF01560C
	v_mul_f32_dpp v207, v12, v207 row_newbcast:7 row_mask:0xf bank_mask:0xf// 000000005E14: 0B9F9EFA FF01570C
	v_mul_f32_e32 v204, v18, v204                              // 000000005E1C: 0B999912
	v_mul_f32_e32 v205, v18, v205                              // 000000005E20: 0B9B9B12
	v_mul_f32_e32 v206, v18, v206                              // 000000005E24: 0B9D9D12
	v_mul_f32_e32 v207, v18, v207                              // 000000005E28: 0B9F9F12
	v_mul_f32_e32 v208, v22, v208                              // 000000005E2C: 0BA1A116
	v_mul_f32_e32 v209, v22, v209                              // 000000005E30: 0BA3A316
	v_mul_f32_e32 v210, v22, v210                              // 000000005E34: 0BA5A516
	v_mul_f32_e32 v211, v22, v211                              // 000000005E38: 0BA7A716
	v_mul_f32_dpp v208, v12, v208 row_newbcast:8 row_mask:0xf bank_mask:0xf// 000000005E3C: 0BA1A0FA FF01580C
	v_mul_f32_dpp v209, v12, v209 row_newbcast:9 row_mask:0xf bank_mask:0xf// 000000005E44: 0BA3A2FA FF01590C
	v_mul_f32_dpp v210, v12, v210 row_newbcast:10 row_mask:0xf bank_mask:0xf// 000000005E4C: 0BA5A4FA FF015A0C
	v_mul_f32_dpp v211, v12, v211 row_newbcast:11 row_mask:0xf bank_mask:0xf// 000000005E54: 0BA7A6FA FF015B0C
	v_mul_f32_e32 v208, v17, v208                              // 000000005E5C: 0BA1A111
	v_mul_f32_e32 v209, v17, v209                              // 000000005E60: 0BA3A311
	v_mul_f32_e32 v210, v17, v210                              // 000000005E64: 0BA5A511
	v_mul_f32_e32 v211, v17, v211                              // 000000005E68: 0BA7A711
	v_mul_f32_e32 v212, v23, v212                              // 000000005E6C: 0BA9A917
	v_mul_f32_e32 v213, v23, v213                              // 000000005E70: 0BABAB17
	v_mul_f32_e32 v214, v23, v214                              // 000000005E74: 0BADAD17
	v_mul_f32_e32 v215, v23, v215                              // 000000005E78: 0BAFAF17
	v_mul_f32_dpp v212, v12, v212 row_newbcast:8 row_mask:0xf bank_mask:0xf// 000000005E7C: 0BA9A8FA FF01580C
	v_mul_f32_dpp v213, v12, v213 row_newbcast:9 row_mask:0xf bank_mask:0xf// 000000005E84: 0BABAAFA FF01590C
	v_mul_f32_dpp v214, v12, v214 row_newbcast:10 row_mask:0xf bank_mask:0xf// 000000005E8C: 0BADACFA FF015A0C
	v_mul_f32_dpp v215, v12, v215 row_newbcast:11 row_mask:0xf bank_mask:0xf// 000000005E94: 0BAFAEFA FF015B0C
	v_mul_f32_e32 v212, v18, v212                              // 000000005E9C: 0BA9A912
	v_mul_f32_e32 v213, v18, v213                              // 000000005EA0: 0BABAB12
	v_mul_f32_e32 v214, v18, v214                              // 000000005EA4: 0BADAD12
	v_mul_f32_e32 v215, v18, v215                              // 000000005EA8: 0BAFAF12
	v_mul_f32_e32 v216, v22, v216                              // 000000005EAC: 0BB1B116
	v_mul_f32_e32 v217, v22, v217                              // 000000005EB0: 0BB3B316
	v_mul_f32_e32 v218, v22, v218                              // 000000005EB4: 0BB5B516
	v_mul_f32_e32 v219, v22, v219                              // 000000005EB8: 0BB7B716
	v_mul_f32_dpp v216, v12, v216 row_newbcast:12 row_mask:0xf bank_mask:0xf// 000000005EBC: 0BB1B0FA FF015C0C
	v_mul_f32_dpp v217, v12, v217 row_newbcast:13 row_mask:0xf bank_mask:0xf// 000000005EC4: 0BB3B2FA FF015D0C
	v_mul_f32_dpp v218, v12, v218 row_newbcast:14 row_mask:0xf bank_mask:0xf// 000000005ECC: 0BB5B4FA FF015E0C
	v_mul_f32_dpp v219, v12, v219 row_newbcast:15 row_mask:0xf bank_mask:0xf// 000000005ED4: 0BB7B6FA FF015F0C
	v_mul_f32_e32 v216, v17, v216                              // 000000005EDC: 0BB1B111
	v_mul_f32_e32 v217, v17, v217                              // 000000005EE0: 0BB3B311
	v_mul_f32_e32 v218, v17, v218                              // 000000005EE4: 0BB5B511
	v_mul_f32_e32 v219, v17, v219                              // 000000005EE8: 0BB7B711
	v_mul_f32_e32 v220, v23, v220                              // 000000005EEC: 0BB9B917
	v_mul_f32_e32 v221, v23, v221                              // 000000005EF0: 0BBBBB17
	v_mul_f32_e32 v222, v23, v222                              // 000000005EF4: 0BBDBD17
	v_mul_f32_e32 v223, v23, v223                              // 000000005EF8: 0BBFBF17
	v_mul_f32_dpp v220, v12, v220 row_newbcast:12 row_mask:0xf bank_mask:0xf// 000000005EFC: 0BB9B8FA FF015C0C
	v_mul_f32_dpp v221, v12, v221 row_newbcast:13 row_mask:0xf bank_mask:0xf// 000000005F04: 0BBBBAFA FF015D0C
	v_mul_f32_dpp v222, v12, v222 row_newbcast:14 row_mask:0xf bank_mask:0xf// 000000005F0C: 0BBDBCFA FF015E0C
	v_mul_f32_dpp v223, v12, v223 row_newbcast:15 row_mask:0xf bank_mask:0xf// 000000005F14: 0BBFBEFA FF015F0C
	v_mul_f32_e32 v220, v18, v220                              // 000000005F1C: 0BB9B912
	v_mul_f32_e32 v221, v18, v221                              // 000000005F20: 0BBBBB12
	v_mul_f32_e32 v222, v18, v222                              // 000000005F24: 0BBDBD12
	v_mul_f32_e32 v223, v18, v223                              // 000000005F28: 0BBFBF12
	v_cvt_pkrtz_f16_f32 v192, v192, v193                       // 000000005F2C: D29600C0 000383C0
	v_cvt_pkrtz_f16_f32 v193, v194, v195                       // 000000005F34: D29600C1 000387C2
	v_cvt_pkrtz_f16_f32 v194, v196, v197                       // 000000005F3C: D29600C2 00038BC4
	v_cvt_pkrtz_f16_f32 v195, v198, v199                       // 000000005F44: D29600C3 00038FC6
	v_cvt_pkrtz_f16_f32 v196, v200, v201                       // 000000005F4C: D29600C4 000393C8
	v_cvt_pkrtz_f16_f32 v197, v202, v203                       // 000000005F54: D29600C5 000397CA
	v_cvt_pkrtz_f16_f32 v198, v204, v205                       // 000000005F5C: D29600C6 00039BCC
	v_cvt_pkrtz_f16_f32 v199, v206, v207                       // 000000005F64: D29600C7 00039FCE
	v_cvt_pkrtz_f16_f32 v200, v208, v209                       // 000000005F6C: D29600C8 0003A3D0
	v_cvt_pkrtz_f16_f32 v201, v210, v211                       // 000000005F74: D29600C9 0003A7D2
	v_cvt_pkrtz_f16_f32 v202, v212, v213                       // 000000005F7C: D29600CA 0003ABD4
	v_cvt_pkrtz_f16_f32 v203, v214, v215                       // 000000005F84: D29600CB 0003AFD6
	v_cvt_pkrtz_f16_f32 v204, v216, v217                       // 000000005F8C: D29600CC 0003B3D8
	v_cvt_pkrtz_f16_f32 v205, v218, v219                       // 000000005F94: D29600CD 0003B7DA
	v_cvt_pkrtz_f16_f32 v206, v220, v221                       // 000000005F9C: D29600CE 0003BBDC
	v_cvt_pkrtz_f16_f32 v207, v222, v223                       // 000000005FA4: D29600CF 0003BFDE
	ds_write_b64 v3, v[192:193] offset:26880                   // 000000005FAC: D89A6900 0000C003
	ds_write_b64 v3, v[194:195] offset:35584                   // 000000005FB4: D89A8B00 0000C203
	ds_write_b64 v3, v[196:197] offset:29056                   // 000000005FBC: D89A7180 0000C403
	ds_write_b64 v3, v[198:199] offset:37760                   // 000000005FC4: D89A9380 0000C603
	ds_write_b64 v3, v[200:201] offset:31232                   // 000000005FCC: D89A7A00 0000C803
	ds_write_b64 v3, v[202:203] offset:39936                   // 000000005FD4: D89A9C00 0000CA03
	ds_write_b64 v3, v[204:205] offset:33408                   // 000000005FDC: D89A8280 0000CC03
	ds_write_b64 v3, v[206:207] offset:42112                   // 000000005FE4: D89AA480 0000CE03
	s_waitcnt lgkmcnt(0)                                       // 000000005FEC: BF8CC07F
	s_barrier                                                  // 000000005FF0: BF8A0000
	ds_read_b32 v64, v4 offset:26880                           // 000000005FF4: D86C6900 40000004
	ds_read_b32 v65, v4 offset:31232                           // 000000005FFC: D86C7A00 41000004
	ds_read_b32 v66, v4 offset:26912                           // 000000006004: D86C6920 42000004
	ds_read_b32 v67, v4 offset:31264                           // 00000000600C: D86C7A20 43000004
	ds_read_b32 v68, v4 offset:26944                           // 000000006014: D86C6940 44000004
	ds_read_b32 v69, v4 offset:31296                           // 00000000601C: D86C7A40 45000004
	ds_read_b32 v70, v4 offset:26976                           // 000000006024: D86C6960 46000004
	ds_read_b32 v71, v4 offset:31328                           // 00000000602C: D86C7A60 47000004
	ds_read_b32 v72, v4 offset:35584                           // 000000006034: D86C8B00 48000004
	ds_read_b32 v73, v4 offset:39936                           // 00000000603C: D86C9C00 49000004
	ds_read_b32 v74, v4 offset:35616                           // 000000006044: D86C8B20 4A000004
	ds_read_b32 v75, v4 offset:39968                           // 00000000604C: D86C9C20 4B000004
	ds_read_b32 v76, v4 offset:35648                           // 000000006054: D86C8B40 4C000004
	ds_read_b32 v77, v4 offset:40000                           // 00000000605C: D86C9C40 4D000004
	ds_read_b32 v78, v4 offset:35680                           // 000000006064: D86C8B60 4E000004
	ds_read_b32 v79, v4 offset:40032                           // 00000000606C: D86C9C60 4F000004
	s_waitcnt lgkmcnt(0)                                       // 000000006074: BF8CC07F
	s_mov_b64 exec, s[20:21]                                   // 000000006078: BEFE0114
	global_atomic_pk_add_f16 v80, v64, s[8:9]                  // 00000000607C: DD388000 00084050
	s_mov_b64 exec, s[36:37]                                   // 000000006084: BEFE0124
	s_mov_b64 exec, s[20:21]                                   // 000000006088: BEFE0114
	global_atomic_pk_add_f16 v80, v65, s[8:9] offset:256       // 00000000608C: DD388100 00084150
	s_mov_b64 exec, s[36:37]                                   // 000000006094: BEFE0124
	s_mov_b64 exec, s[22:23]                                   // 000000006098: BEFE0116
	global_atomic_pk_add_f16 v82, v66, s[8:9]                  // 00000000609C: DD388000 00084252
	s_mov_b64 exec, s[36:37]                                   // 0000000060A4: BEFE0124
	s_mov_b64 exec, s[22:23]                                   // 0000000060A8: BEFE0116
	global_atomic_pk_add_f16 v82, v67, s[8:9] offset:256       // 0000000060AC: DD388100 00084352
	s_mov_b64 exec, s[36:37]                                   // 0000000060B4: BEFE0124
	s_mov_b64 exec, s[24:25]                                   // 0000000060B8: BEFE0118
	global_atomic_pk_add_f16 v84, v68, s[8:9]                  // 0000000060BC: DD388000 00084454
	s_mov_b64 exec, s[36:37]                                   // 0000000060C4: BEFE0124
	s_mov_b64 exec, s[24:25]                                   // 0000000060C8: BEFE0118
	global_atomic_pk_add_f16 v84, v69, s[8:9] offset:256       // 0000000060CC: DD388100 00084554
	s_mov_b64 exec, s[36:37]                                   // 0000000060D4: BEFE0124
	s_mov_b64 exec, s[26:27]                                   // 0000000060D8: BEFE011A
	global_atomic_pk_add_f16 v86, v70, s[8:9]                  // 0000000060DC: DD388000 00084656
	s_mov_b64 exec, s[36:37]                                   // 0000000060E4: BEFE0124
	s_mov_b64 exec, s[26:27]                                   // 0000000060E8: BEFE011A
	global_atomic_pk_add_f16 v86, v71, s[8:9] offset:256       // 0000000060EC: DD388100 00084756
	s_mov_b64 exec, s[36:37]                                   // 0000000060F4: BEFE0124
	s_mov_b64 exec, s[28:29]                                   // 0000000060F8: BEFE011C
	global_atomic_pk_add_f16 v88, v72, s[8:9]                  // 0000000060FC: DD388000 00084858
	s_mov_b64 exec, s[36:37]                                   // 000000006104: BEFE0124
	s_mov_b64 exec, s[28:29]                                   // 000000006108: BEFE011C
	global_atomic_pk_add_f16 v88, v73, s[8:9] offset:256       // 00000000610C: DD388100 00084958
	s_mov_b64 exec, s[36:37]                                   // 000000006114: BEFE0124
	s_mov_b64 exec, s[30:31]                                   // 000000006118: BEFE011E
	global_atomic_pk_add_f16 v90, v74, s[8:9]                  // 00000000611C: DD388000 00084A5A
	s_mov_b64 exec, s[36:37]                                   // 000000006124: BEFE0124
	s_mov_b64 exec, s[30:31]                                   // 000000006128: BEFE011E
	global_atomic_pk_add_f16 v90, v75, s[8:9] offset:256       // 00000000612C: DD388100 00084B5A
	s_mov_b64 exec, s[36:37]                                   // 000000006134: BEFE0124
	s_mov_b64 exec, s[32:33]                                   // 000000006138: BEFE0120
	global_atomic_pk_add_f16 v92, v76, s[8:9]                  // 00000000613C: DD388000 00084C5C
	s_mov_b64 exec, s[36:37]                                   // 000000006144: BEFE0124
	s_mov_b64 exec, s[32:33]                                   // 000000006148: BEFE0120
	global_atomic_pk_add_f16 v92, v77, s[8:9] offset:256       // 00000000614C: DD388100 00084D5C
	s_mov_b64 exec, s[36:37]                                   // 000000006154: BEFE0124
	s_mov_b64 exec, s[34:35]                                   // 000000006158: BEFE0122
	global_atomic_pk_add_f16 v94, v78, s[8:9]                  // 00000000615C: DD388000 00084E5E
	s_mov_b64 exec, s[36:37]                                   // 000000006164: BEFE0124
	s_mov_b64 exec, s[34:35]                                   // 000000006168: BEFE0122
	global_atomic_pk_add_f16 v94, v79, s[8:9] offset:256       // 00000000616C: DD388100 00084F5E
	s_mov_b64 exec, s[36:37]                                   // 000000006174: BEFE0124
	s_add_u32 s8, s59, s8                                      // 000000006178: 8008083B
	s_addc_u32 s9, 0, s9                                       // 00000000617C: 82090980
	s_addk_i32 s80, 0x100                                      // 000000006180: B7500100
	s_cmp_lt_i32 s80, s81                                      // 000000006184: BF045150
	s_cbranch_scc0 label_0CE4                                  // 000000006188: BF840001
	s_branch label_0945                                        // 00000000618C: BF82FC61

0000000000006190 <label_0CE4>:
	s_nop 0                                                    // 000000006190: BF800000
	s_nop 0                                                    // 000000006194: BF800000
	s_branch label_1739                                        // 000000006198: BF820A52

000000000000619c <label_0CE7>:
	s_waitcnt vmcnt(8) lgkmcnt(0)                              // 00000000619C: BF8C0078
	s_barrier                                                  // 0000000061A0: BF8A0000
	v_mfma_f32_16x16x32_fp8_fp8 v[128:131], a[0:1], v[160:161], v[128:131]// 0000000061A4: D3F30080 0E034100
	buffer_load_dwordx4 a[64:67], v32, s[92:95], 0 offen       // 0000000061AC: E05C1000 80974020
	v_mfma_f32_16x16x32_fp8_fp8 v[128:131], a[2:3], v[162:163], v[128:131]// 0000000061B4: D3F30080 0E034502
	v_mfma_f32_16x16x32_fp8_fp8 v[128:131], a[4:5], v[164:165], v[128:131]// 0000000061BC: D3F30080 0E034904
	buffer_load_dword v24, s[20:23], 0 offen lds               // 0000000061C4: E0511000 80050018
	s_add_u32 m0, 0x100, s51                                   // 0000000061CC: 807C33FF 00000100
	v_mfma_f32_16x16x32_fp8_fp8 v[128:131], a[6:7], v[166:167], v[128:131]// 0000000061D4: D3F30080 0E034D06
	v_mfma_f32_16x16x32_fp8_fp8 v[128:131], a[8:9], v[168:169], v[128:131]// 0000000061DC: D3F30080 0E035108
	buffer_load_dwordx4 a[68:71], v32, s[92:95], 0 offen offset:1024// 0000000061E4: E05C1400 80974420
	v_mfma_f32_16x16x32_fp8_fp8 v[128:131], a[10:11], v[170:171], v[128:131]// 0000000061EC: D3F30080 0E03550A
	v_mfma_f32_16x16x32_fp8_fp8 v[128:131], a[12:13], v[172:173], v[128:131]// 0000000061F4: D3F30080 0E03590C
	buffer_load_dword v25, s[20:23], 0 offen lds               // 0000000061FC: E0511000 80050019
	s_add_u32 m0, 0x200, s51                                   // 000000006204: 807C33FF 00000200
	v_mfma_f32_16x16x32_fp8_fp8 v[128:131], a[14:15], v[174:175], v[128:131]// 00000000620C: D3F30080 0E035D0E
	v_mfma_f32_16x16x32_fp8_fp8 v[132:135], a[0:1], v[176:177], v[132:135]// 000000006214: D3F30084 0E136100
	buffer_load_dwordx4 a[72:75], v32, s[92:95], 0 offen offset:2048// 00000000621C: E05C1800 80974820
	v_mfma_f32_16x16x32_fp8_fp8 v[132:135], a[2:3], v[178:179], v[132:135]// 000000006224: D3F30084 0E136502
	v_mfma_f32_16x16x32_fp8_fp8 v[132:135], a[4:5], v[180:181], v[132:135]// 00000000622C: D3F30084 0E136904
	buffer_load_dword v26, s[20:23], 0 offen lds               // 000000006234: E0511000 8005001A
	s_add_u32 m0, 0x300, s51                                   // 00000000623C: 807C33FF 00000300
	v_mfma_f32_16x16x32_fp8_fp8 v[132:135], a[6:7], v[182:183], v[132:135]// 000000006244: D3F30084 0E136D06
	v_mfma_f32_16x16x32_fp8_fp8 v[132:135], a[8:9], v[184:185], v[132:135]// 00000000624C: D3F30084 0E137108
	buffer_load_dwordx4 a[76:79], v32, s[92:95], 0 offen offset:3072// 000000006254: E05C1C00 80974C20
	v_mfma_f32_16x16x32_fp8_fp8 v[132:135], a[10:11], v[186:187], v[132:135]// 00000000625C: D3F30084 0E13750A
	v_mfma_f32_16x16x32_fp8_fp8 v[132:135], a[12:13], v[188:189], v[132:135]// 000000006264: D3F30084 0E13790C
	buffer_load_dword v27, s[20:23], 0 offen lds               // 00000000626C: E0511000 8005001B
	s_add_u32 m0, 0x400, s51                                   // 000000006274: 807C33FF 00000400
	v_mfma_f32_16x16x32_fp8_fp8 v[132:135], a[14:15], v[190:191], v[132:135]// 00000000627C: D3F30084 0E137D0E
	v_mfma_f32_16x16x32_fp8_fp8 v[136:139], a[16:17], v[160:161], v[136:139]// 000000006284: D3F30088 0E234110
	buffer_load_dwordx4 a[80:83], v33, s[92:95], 0 offen       // 00000000628C: E05C1000 80975021
	v_mfma_f32_16x16x32_fp8_fp8 v[136:139], a[18:19], v[162:163], v[136:139]// 000000006294: D3F30088 0E234512
	v_mfma_f32_16x16x32_fp8_fp8 v[136:139], a[20:21], v[164:165], v[136:139]// 00000000629C: D3F30088 0E234914
	buffer_load_dword v28, s[20:23], 0 offen lds               // 0000000062A4: E0511000 8005001C
	s_add_u32 m0, 0x500, s51                                   // 0000000062AC: 807C33FF 00000500
	v_mfma_f32_16x16x32_fp8_fp8 v[136:139], a[22:23], v[166:167], v[136:139]// 0000000062B4: D3F30088 0E234D16
	v_mfma_f32_16x16x32_fp8_fp8 v[136:139], a[24:25], v[168:169], v[136:139]// 0000000062BC: D3F30088 0E235118
	buffer_load_dwordx4 a[84:87], v33, s[92:95], 0 offen offset:1024// 0000000062C4: E05C1400 80975421
	v_mfma_f32_16x16x32_fp8_fp8 v[136:139], a[26:27], v[170:171], v[136:139]// 0000000062CC: D3F30088 0E23551A
	v_mfma_f32_16x16x32_fp8_fp8 v[136:139], a[28:29], v[172:173], v[136:139]// 0000000062D4: D3F30088 0E23591C
	buffer_load_dword v29, s[20:23], 0 offen lds               // 0000000062DC: E0511000 8005001D
	s_add_u32 m0, 0x600, s51                                   // 0000000062E4: 807C33FF 00000600
	v_mfma_f32_16x16x32_fp8_fp8 v[136:139], a[30:31], v[174:175], v[136:139]// 0000000062EC: D3F30088 0E235D1E
	v_mfma_f32_16x16x32_fp8_fp8 v[140:143], a[16:17], v[176:177], v[140:143]// 0000000062F4: D3F3008C 0E336110
	buffer_load_dwordx4 a[88:91], v33, s[92:95], 0 offen offset:2048// 0000000062FC: E05C1800 80975821
	v_mfma_f32_16x16x32_fp8_fp8 v[140:143], a[18:19], v[178:179], v[140:143]// 000000006304: D3F3008C 0E336512
	v_mfma_f32_16x16x32_fp8_fp8 v[140:143], a[20:21], v[180:181], v[140:143]// 00000000630C: D3F3008C 0E336914
	buffer_load_dword v30, s[20:23], 0 offen lds               // 000000006314: E0511000 8005001E
	s_add_u32 m0, 0x700, s51                                   // 00000000631C: 807C33FF 00000700
	v_mfma_f32_16x16x32_fp8_fp8 v[140:143], a[22:23], v[182:183], v[140:143]// 000000006324: D3F3008C 0E336D16
	v_mfma_f32_16x16x32_fp8_fp8 v[140:143], a[24:25], v[184:185], v[140:143]// 00000000632C: D3F3008C 0E337118
	buffer_load_dwordx4 a[92:95], v33, s[92:95], 0 offen offset:3072// 000000006334: E05C1C00 80975C21
	v_mfma_f32_16x16x32_fp8_fp8 v[140:143], a[26:27], v[186:187], v[140:143]// 00000000633C: D3F3008C 0E33751A
	v_mfma_f32_16x16x32_fp8_fp8 v[140:143], a[28:29], v[188:189], v[140:143]// 000000006344: D3F3008C 0E33791C
	buffer_load_dword v31, s[20:23], 0 offen lds               // 00000000634C: E0511000 8005001F
	s_add_u32 m0, 0, s50                                       // 000000006354: 807C3280
	v_mfma_f32_16x16x32_fp8_fp8 v[140:143], a[30:31], v[190:191], v[140:143]// 000000006358: D3F3008C 0E337D1E
	s_waitcnt vmcnt(20)                                        // 000000006360: BF8C4F74
	v_mfma_f32_16x16x32_fp8_fp8 v[144:147], a[32:33], v[160:161], v[144:147]// 000000006364: D3F30090 0E434120
	buffer_load_dwordx4 a[96:99], v34, s[92:95], 0 offen       // 00000000636C: E05C1000 80976022
	v_mfma_f32_16x16x32_fp8_fp8 v[144:147], a[34:35], v[162:163], v[144:147]// 000000006374: D3F30090 0E434522
	v_mfma_f32_16x16x32_fp8_fp8 v[144:147], a[36:37], v[164:165], v[144:147]// 00000000637C: D3F30090 0E434924
	v_mfma_f32_16x16x32_fp8_fp8 v[144:147], a[38:39], v[166:167], v[144:147]// 000000006384: D3F30090 0E434D26
	v_mfma_f32_16x16x32_fp8_fp8 v[144:147], a[40:41], v[168:169], v[144:147]// 00000000638C: D3F30090 0E435128
	buffer_load_dwordx4 a[100:103], v34, s[92:95], 0 offen offset:1024// 000000006394: E05C1400 80976422
	v_mfma_f32_16x16x32_fp8_fp8 v[144:147], a[42:43], v[170:171], v[144:147]// 00000000639C: D3F30090 0E43552A
	v_mfma_f32_16x16x32_fp8_fp8 v[144:147], a[44:45], v[172:173], v[144:147]// 0000000063A4: D3F30090 0E43592C
	v_mfma_f32_16x16x32_fp8_fp8 v[144:147], a[46:47], v[174:175], v[144:147]// 0000000063AC: D3F30090 0E435D2E
	v_mfma_f32_16x16x32_fp8_fp8 v[148:151], a[32:33], v[176:177], v[148:151]// 0000000063B4: D3F30094 0E536120
	buffer_load_dwordx4 a[104:107], v34, s[92:95], 0 offen offset:2048// 0000000063BC: E05C1800 80976822
	v_mfma_f32_16x16x32_fp8_fp8 v[148:151], a[34:35], v[178:179], v[148:151]// 0000000063C4: D3F30094 0E536522
	v_mfma_f32_16x16x32_fp8_fp8 v[148:151], a[36:37], v[180:181], v[148:151]// 0000000063CC: D3F30094 0E536924
	v_mfma_f32_16x16x32_fp8_fp8 v[148:151], a[38:39], v[182:183], v[148:151]// 0000000063D4: D3F30094 0E536D26
	v_mfma_f32_16x16x32_fp8_fp8 v[148:151], a[40:41], v[184:185], v[148:151]// 0000000063DC: D3F30094 0E537128
	buffer_load_dwordx4 a[108:111], v34, s[92:95], 0 offen offset:3072// 0000000063E4: E05C1C00 80976C22
	v_mfma_f32_16x16x32_fp8_fp8 v[148:151], a[42:43], v[186:187], v[148:151]// 0000000063EC: D3F30094 0E53752A
	v_mfma_f32_16x16x32_fp8_fp8 v[148:151], a[44:45], v[188:189], v[148:151]// 0000000063F4: D3F30094 0E53792C
	v_mfma_f32_16x16x32_fp8_fp8 v[148:151], a[46:47], v[190:191], v[148:151]// 0000000063FC: D3F30094 0E537D2E
	s_waitcnt vmcnt(20)                                        // 000000006404: BF8C4F74
	v_mfma_f32_16x16x32_fp8_fp8 v[152:155], a[48:49], v[160:161], v[152:155]// 000000006408: D3F30098 0E634130
	buffer_load_dwordx4 a[112:115], v35, s[92:95], 0 offen     // 000000006410: E05C1000 80977023
	v_mfma_f32_16x16x32_fp8_fp8 v[152:155], a[50:51], v[162:163], v[152:155]// 000000006418: D3F30098 0E634532
	v_mfma_f32_16x16x32_fp8_fp8 v[152:155], a[52:53], v[164:165], v[152:155]// 000000006420: D3F30098 0E634934
	v_mfma_f32_16x16x32_fp8_fp8 v[152:155], a[54:55], v[166:167], v[152:155]// 000000006428: D3F30098 0E634D36
	v_mfma_f32_16x16x32_fp8_fp8 v[152:155], a[56:57], v[168:169], v[152:155]// 000000006430: D3F30098 0E635138
	buffer_load_dwordx4 a[116:119], v35, s[92:95], 0 offen offset:1024// 000000006438: E05C1400 80977423
	v_mfma_f32_16x16x32_fp8_fp8 v[152:155], a[58:59], v[170:171], v[152:155]// 000000006440: D3F30098 0E63553A
	v_mfma_f32_16x16x32_fp8_fp8 v[152:155], a[60:61], v[172:173], v[152:155]// 000000006448: D3F30098 0E63593C
	v_mfma_f32_16x16x32_fp8_fp8 v[152:155], a[62:63], v[174:175], v[152:155]// 000000006450: D3F30098 0E635D3E
	v_mfma_f32_16x16x32_fp8_fp8 v[156:159], a[48:49], v[176:177], v[156:159]// 000000006458: D3F3009C 0E736130
	buffer_load_dwordx4 a[120:123], v35, s[92:95], 0 offen offset:2048// 000000006460: E05C1800 80977823
	v_mfma_f32_16x16x32_fp8_fp8 v[156:159], a[50:51], v[178:179], v[156:159]// 000000006468: D3F3009C 0E736532
	v_mfma_f32_16x16x32_fp8_fp8 v[156:159], a[52:53], v[180:181], v[156:159]// 000000006470: D3F3009C 0E736934
	v_mfma_f32_16x16x32_fp8_fp8 v[156:159], a[54:55], v[182:183], v[156:159]// 000000006478: D3F3009C 0E736D36
	v_mfma_f32_16x16x32_fp8_fp8 v[156:159], a[56:57], v[184:185], v[156:159]// 000000006480: D3F3009C 0E737138
	buffer_load_dwordx4 a[124:127], v35, s[92:95], 0 offen offset:3072// 000000006488: E05C1C00 80977C23
	v_mfma_f32_16x16x32_fp8_fp8 v[156:159], a[58:59], v[186:187], v[156:159]// 000000006490: D3F3009C 0E73753A
	v_mfma_f32_16x16x32_fp8_fp8 v[156:159], a[60:61], v[188:189], v[156:159]// 000000006498: D3F3009C 0E73793C
	v_mfma_f32_16x16x32_fp8_fp8 v[156:159], a[62:63], v[190:191], v[156:159]// 0000000064A0: D3F3009C 0E737D3E
	s_waitcnt vmcnt(8)                                         // 0000000064A8: BF8C0F78
	s_barrier                                                  // 0000000064AC: BF8A0000
	v_mfma_f32_16x16x32_fp8_fp8 v[64:67], a[64:65], v[160:161], v[64:67]// 0000000064B0: D3F30040 0D034140
	buffer_load_dwordx4 a[0:3], v32, s[24:27], 0 offen         // 0000000064B8: E05C1000 80860020
	v_mfma_f32_16x16x32_fp8_fp8 v[64:67], a[66:67], v[162:163], v[64:67]// 0000000064C0: D3F30040 0D034542
	v_mfma_f32_16x16x32_fp8_fp8 v[64:67], a[68:69], v[164:165], v[64:67]// 0000000064C8: D3F30040 0D034944
	v_mfma_f32_16x16x32_fp8_fp8 v[64:67], a[70:71], v[166:167], v[64:67]// 0000000064D0: D3F30040 0D034D46
	v_mfma_f32_16x16x32_fp8_fp8 v[64:67], a[72:73], v[168:169], v[64:67]// 0000000064D8: D3F30040 0D035148
	buffer_load_dwordx4 a[4:7], v32, s[24:27], 0 offen offset:1024// 0000000064E0: E05C1400 80860420
	v_mfma_f32_16x16x32_fp8_fp8 v[64:67], a[74:75], v[170:171], v[64:67]// 0000000064E8: D3F30040 0D03554A
	v_mfma_f32_16x16x32_fp8_fp8 v[64:67], a[76:77], v[172:173], v[64:67]// 0000000064F0: D3F30040 0D03594C
	v_mfma_f32_16x16x32_fp8_fp8 v[64:67], a[78:79], v[174:175], v[64:67]// 0000000064F8: D3F30040 0D035D4E
	v_mfma_f32_16x16x32_fp8_fp8 v[68:71], a[64:65], v[176:177], v[68:71]// 000000006500: D3F30044 0D136140
	buffer_load_dwordx4 a[8:11], v32, s[24:27], 0 offen offset:2048// 000000006508: E05C1800 80860820
	v_mfma_f32_16x16x32_fp8_fp8 v[68:71], a[66:67], v[178:179], v[68:71]// 000000006510: D3F30044 0D136542
	v_mfma_f32_16x16x32_fp8_fp8 v[68:71], a[68:69], v[180:181], v[68:71]// 000000006518: D3F30044 0D136944
	v_mfma_f32_16x16x32_fp8_fp8 v[68:71], a[70:71], v[182:183], v[68:71]// 000000006520: D3F30044 0D136D46
	v_mfma_f32_16x16x32_fp8_fp8 v[68:71], a[72:73], v[184:185], v[68:71]// 000000006528: D3F30044 0D137148
	buffer_load_dwordx4 a[12:15], v32, s[24:27], 0 offen offset:3072// 000000006530: E05C1C00 80860C20
	v_mfma_f32_16x16x32_fp8_fp8 v[68:71], a[74:75], v[186:187], v[68:71]// 000000006538: D3F30044 0D13754A
	v_mfma_f32_16x16x32_fp8_fp8 v[68:71], a[76:77], v[188:189], v[68:71]// 000000006540: D3F30044 0D13794C
	v_mfma_f32_16x16x32_fp8_fp8 v[68:71], a[78:79], v[190:191], v[68:71]// 000000006548: D3F30044 0D137D4E
	v_mfma_f32_16x16x32_fp8_fp8 v[72:75], a[80:81], v[160:161], v[72:75]// 000000006550: D3F30048 0D234150
	buffer_load_dwordx4 a[16:19], v33, s[24:27], 0 offen       // 000000006558: E05C1000 80861021
	v_mfma_f32_16x16x32_fp8_fp8 v[72:75], a[82:83], v[162:163], v[72:75]// 000000006560: D3F30048 0D234552
	v_mfma_f32_16x16x32_fp8_fp8 v[72:75], a[84:85], v[164:165], v[72:75]// 000000006568: D3F30048 0D234954
	v_mfma_f32_16x16x32_fp8_fp8 v[72:75], a[86:87], v[166:167], v[72:75]// 000000006570: D3F30048 0D234D56
	v_mfma_f32_16x16x32_fp8_fp8 v[72:75], a[88:89], v[168:169], v[72:75]// 000000006578: D3F30048 0D235158
	buffer_load_dwordx4 a[20:23], v33, s[24:27], 0 offen offset:1024// 000000006580: E05C1400 80861421
	v_mfma_f32_16x16x32_fp8_fp8 v[72:75], a[90:91], v[170:171], v[72:75]// 000000006588: D3F30048 0D23555A
	v_mfma_f32_16x16x32_fp8_fp8 v[72:75], a[92:93], v[172:173], v[72:75]// 000000006590: D3F30048 0D23595C
	v_mfma_f32_16x16x32_fp8_fp8 v[72:75], a[94:95], v[174:175], v[72:75]// 000000006598: D3F30048 0D235D5E
	v_mfma_f32_16x16x32_fp8_fp8 v[76:79], a[80:81], v[176:177], v[76:79]// 0000000065A0: D3F3004C 0D336150
	buffer_load_dwordx4 a[24:27], v33, s[24:27], 0 offen offset:2048// 0000000065A8: E05C1800 80861821
	v_mfma_f32_16x16x32_fp8_fp8 v[76:79], a[82:83], v[178:179], v[76:79]// 0000000065B0: D3F3004C 0D336552
	v_mfma_f32_16x16x32_fp8_fp8 v[76:79], a[84:85], v[180:181], v[76:79]// 0000000065B8: D3F3004C 0D336954
	v_mfma_f32_16x16x32_fp8_fp8 v[76:79], a[86:87], v[182:183], v[76:79]// 0000000065C0: D3F3004C 0D336D56
	v_mfma_f32_16x16x32_fp8_fp8 v[76:79], a[88:89], v[184:185], v[76:79]// 0000000065C8: D3F3004C 0D337158
	buffer_load_dwordx4 a[28:31], v33, s[24:27], 0 offen offset:3072// 0000000065D0: E05C1C00 80861C21
	v_mfma_f32_16x16x32_fp8_fp8 v[76:79], a[90:91], v[186:187], v[76:79]// 0000000065D8: D3F3004C 0D33755A
	v_mfma_f32_16x16x32_fp8_fp8 v[76:79], a[92:93], v[188:189], v[76:79]// 0000000065E0: D3F3004C 0D33795C
	v_mfma_f32_16x16x32_fp8_fp8 v[76:79], a[94:95], v[190:191], v[76:79]// 0000000065E8: D3F3004C 0D337D5E
	s_waitcnt vmcnt(12)                                        // 0000000065F0: BF8C0F7C
	v_mfma_f32_16x16x32_fp8_fp8 v[80:83], a[96:97], v[160:161], v[80:83]// 0000000065F4: D3F30050 0D434160
	buffer_load_dwordx4 a[32:35], v34, s[24:27], 0 offen       // 0000000065FC: E05C1000 80862022
	v_mfma_f32_16x16x32_fp8_fp8 v[80:83], a[98:99], v[162:163], v[80:83]// 000000006604: D3F30050 0D434562
	v_mfma_f32_16x16x32_fp8_fp8 v[80:83], a[100:101], v[164:165], v[80:83]// 00000000660C: D3F30050 0D434964
	ds_read_b128 v[192:195], v2 offset:8320                    // 000000006614: D9FE2080 C0000002
	v_mfma_f32_16x16x32_fp8_fp8 v[80:83], a[102:103], v[166:167], v[80:83]// 00000000661C: D3F30050 0D434D66
	v_mfma_f32_16x16x32_fp8_fp8 v[80:83], a[104:105], v[168:169], v[80:83]// 000000006624: D3F30050 0D435168
	buffer_load_dwordx4 a[36:39], v34, s[24:27], 0 offen offset:1024// 00000000662C: E05C1400 80862422
	v_mfma_f32_16x16x32_fp8_fp8 v[80:83], a[106:107], v[170:171], v[80:83]// 000000006634: D3F30050 0D43556A
	v_mfma_f32_16x16x32_fp8_fp8 v[80:83], a[108:109], v[172:173], v[80:83]// 00000000663C: D3F30050 0D43596C
	ds_read_b128 v[196:199], v2 offset:8384                    // 000000006644: D9FE20C0 C4000002
	v_mfma_f32_16x16x32_fp8_fp8 v[80:83], a[110:111], v[174:175], v[80:83]// 00000000664C: D3F30050 0D435D6E
	v_mfma_f32_16x16x32_fp8_fp8 v[84:87], a[96:97], v[176:177], v[84:87]// 000000006654: D3F30054 0D536160
	buffer_load_dwordx4 a[40:43], v34, s[24:27], 0 offen offset:2048// 00000000665C: E05C1800 80862822
	v_mfma_f32_16x16x32_fp8_fp8 v[84:87], a[98:99], v[178:179], v[84:87]// 000000006664: D3F30054 0D536562
	v_mfma_f32_16x16x32_fp8_fp8 v[84:87], a[100:101], v[180:181], v[84:87]// 00000000666C: D3F30054 0D536964
	ds_read_b128 v[200:203], v2 offset:8448                    // 000000006674: D9FE2100 C8000002
	v_mfma_f32_16x16x32_fp8_fp8 v[84:87], a[102:103], v[182:183], v[84:87]// 00000000667C: D3F30054 0D536D66
	v_mfma_f32_16x16x32_fp8_fp8 v[84:87], a[104:105], v[184:185], v[84:87]// 000000006684: D3F30054 0D537168
	buffer_load_dwordx4 a[44:47], v34, s[24:27], 0 offen offset:3072// 00000000668C: E05C1C00 80862C22
	v_mfma_f32_16x16x32_fp8_fp8 v[84:87], a[106:107], v[186:187], v[84:87]// 000000006694: D3F30054 0D53756A
	v_mfma_f32_16x16x32_fp8_fp8 v[84:87], a[108:109], v[188:189], v[84:87]// 00000000669C: D3F30054 0D53796C
	ds_read_b128 v[204:207], v2 offset:8512                    // 0000000066A4: D9FE2140 CC000002
	v_mfma_f32_16x16x32_fp8_fp8 v[84:87], a[110:111], v[190:191], v[84:87]// 0000000066AC: D3F30054 0D537D6E
	s_waitcnt vmcnt(12)                                        // 0000000066B4: BF8C0F7C
	v_mfma_f32_16x16x32_fp8_fp8 v[88:91], a[112:113], v[160:161], v[88:91]// 0000000066B8: D3F30058 0D634170
	buffer_load_dwordx4 a[48:51], v35, s[24:27], 0 offen       // 0000000066C0: E05C1000 80863023
	v_mfma_f32_16x16x32_fp8_fp8 v[88:91], a[114:115], v[162:163], v[88:91]// 0000000066C8: D3F30058 0D634572
	v_mfma_f32_16x16x32_fp8_fp8 v[88:91], a[116:117], v[164:165], v[88:91]// 0000000066D0: D3F30058 0D634974
	ds_read_b128 v[208:211], v2 offset:9344                    // 0000000066D8: D9FE2480 D0000002
	v_mfma_f32_16x16x32_fp8_fp8 v[88:91], a[118:119], v[166:167], v[88:91]// 0000000066E0: D3F30058 0D634D76
	v_mfma_f32_16x16x32_fp8_fp8 v[88:91], a[120:121], v[168:169], v[88:91]// 0000000066E8: D3F30058 0D635178
	buffer_load_dwordx4 a[52:55], v35, s[24:27], 0 offen offset:1024// 0000000066F0: E05C1400 80863423
	v_mfma_f32_16x16x32_fp8_fp8 v[88:91], a[122:123], v[170:171], v[88:91]// 0000000066F8: D3F30058 0D63557A
	v_mfma_f32_16x16x32_fp8_fp8 v[88:91], a[124:125], v[172:173], v[88:91]// 000000006700: D3F30058 0D63597C
	ds_read_b128 v[212:215], v2 offset:9408                    // 000000006708: D9FE24C0 D4000002
	v_mfma_f32_16x16x32_fp8_fp8 v[88:91], a[126:127], v[174:175], v[88:91]// 000000006710: D3F30058 0D635D7E
	v_mfma_f32_16x16x32_fp8_fp8 v[92:95], a[112:113], v[176:177], v[92:95]// 000000006718: D3F3005C 0D736170
	buffer_load_dwordx4 a[56:59], v35, s[24:27], 0 offen offset:2048// 000000006720: E05C1800 80863823
	v_mfma_f32_16x16x32_fp8_fp8 v[92:95], a[114:115], v[178:179], v[92:95]// 000000006728: D3F3005C 0D736572
	v_mfma_f32_16x16x32_fp8_fp8 v[92:95], a[116:117], v[180:181], v[92:95]// 000000006730: D3F3005C 0D736974
	ds_read_b128 v[216:219], v2 offset:9472                    // 000000006738: D9FE2500 D8000002
	v_mfma_f32_16x16x32_fp8_fp8 v[92:95], a[118:119], v[182:183], v[92:95]// 000000006740: D3F3005C 0D736D76
	v_mfma_f32_16x16x32_fp8_fp8 v[92:95], a[120:121], v[184:185], v[92:95]// 000000006748: D3F3005C 0D737178
	buffer_load_dwordx4 a[60:63], v35, s[24:27], 0 offen offset:3072// 000000006750: E05C1C00 80863C23
	v_mfma_f32_16x16x32_fp8_fp8 v[92:95], a[122:123], v[186:187], v[92:95]// 000000006758: D3F3005C 0D73757A
	v_mfma_f32_16x16x32_fp8_fp8 v[92:95], a[124:125], v[188:189], v[92:95]// 000000006760: D3F3005C 0D73797C
	ds_read_b128 v[220:223], v2 offset:9536                    // 000000006768: D9FE2540 DC000002
	v_mfma_f32_16x16x32_fp8_fp8 v[92:95], a[126:127], v[190:191], v[92:95]// 000000006770: D3F3005C 0D737D7E
	s_add_u32 s60, 0x200, s80                                  // 000000006778: 803C50FF 00000200
	s_cmp_lt_u32 s60, s81                                      // 000000006780: BF0A513C
	s_cselect_b32 s57, s57, 0                                  // 000000006784: 85398039
	s_add_u32 s60, 0x200, s80                                  // 000000006788: 803C50FF 00000200
	s_cmp_lt_u32 s60, s81                                      // 000000006790: BF0A513C
	s_cselect_b32 s58, s58, 0                                  // 000000006794: 853A803A
	s_add_u32 s20, s57, s20                                    // 000000006798: 80141439
	s_addc_u32 s21, 0, s21                                     // 00000000679C: 82151580
	s_add_u32 s24, s58, s24                                    // 0000000067A0: 8018183A
	s_addc_u32 s25, 0, s25                                     // 0000000067A4: 82191980
	s_add_u32 s92, s90, s92                                    // 0000000067A8: 805C5C5A
	s_addc_u32 s93, 0, s93                                     // 0000000067AC: 825D5D80
	s_addk_i32 s80, 0x100                                      // 0000000067B0: B7500100
	s_cmp_lt_i32 s80, s81                                      // 0000000067B4: BF045150
	s_cbranch_scc0 label_0FF8                                  // 0000000067B8: BF840189
	s_waitcnt vmcnt(8) lgkmcnt(0)                              // 0000000067BC: BF8C0078
	s_barrier                                                  // 0000000067C0: BF8A0000
	v_mfma_f32_16x16x32_fp8_fp8 v[128:131], a[0:1], v[192:193], v[128:131]// 0000000067C4: D3F30080 0E038100
	buffer_load_dwordx4 a[64:67], v32, s[92:95], 0 offen       // 0000000067CC: E05C1000 80974020
	v_mfma_f32_16x16x32_fp8_fp8 v[128:131], a[2:3], v[194:195], v[128:131]// 0000000067D4: D3F30080 0E038502
	v_mfma_f32_16x16x32_fp8_fp8 v[128:131], a[4:5], v[196:197], v[128:131]// 0000000067DC: D3F30080 0E038904
	buffer_load_dword v24, s[20:23], 0 offen lds               // 0000000067E4: E0511000 80050018
	s_add_u32 m0, 0x100, s50                                   // 0000000067EC: 807C32FF 00000100
	v_mfma_f32_16x16x32_fp8_fp8 v[128:131], a[6:7], v[198:199], v[128:131]// 0000000067F4: D3F30080 0E038D06
	v_mfma_f32_16x16x32_fp8_fp8 v[128:131], a[8:9], v[200:201], v[128:131]// 0000000067FC: D3F30080 0E039108
	buffer_load_dwordx4 a[68:71], v32, s[92:95], 0 offen offset:1024// 000000006804: E05C1400 80974420
	v_mfma_f32_16x16x32_fp8_fp8 v[128:131], a[10:11], v[202:203], v[128:131]// 00000000680C: D3F30080 0E03950A
	v_mfma_f32_16x16x32_fp8_fp8 v[128:131], a[12:13], v[204:205], v[128:131]// 000000006814: D3F30080 0E03990C
	buffer_load_dword v25, s[20:23], 0 offen lds               // 00000000681C: E0511000 80050019
	s_add_u32 m0, 0x200, s50                                   // 000000006824: 807C32FF 00000200
	v_mfma_f32_16x16x32_fp8_fp8 v[128:131], a[14:15], v[206:207], v[128:131]// 00000000682C: D3F30080 0E039D0E
	v_mfma_f32_16x16x32_fp8_fp8 v[132:135], a[0:1], v[208:209], v[132:135]// 000000006834: D3F30084 0E13A100
	buffer_load_dwordx4 a[72:75], v32, s[92:95], 0 offen offset:2048// 00000000683C: E05C1800 80974820
	v_mfma_f32_16x16x32_fp8_fp8 v[132:135], a[2:3], v[210:211], v[132:135]// 000000006844: D3F30084 0E13A502
	v_mfma_f32_16x16x32_fp8_fp8 v[132:135], a[4:5], v[212:213], v[132:135]// 00000000684C: D3F30084 0E13A904
	buffer_load_dword v26, s[20:23], 0 offen lds               // 000000006854: E0511000 8005001A
	s_add_u32 m0, 0x300, s50                                   // 00000000685C: 807C32FF 00000300
	v_mfma_f32_16x16x32_fp8_fp8 v[132:135], a[6:7], v[214:215], v[132:135]// 000000006864: D3F30084 0E13AD06
	v_mfma_f32_16x16x32_fp8_fp8 v[132:135], a[8:9], v[216:217], v[132:135]// 00000000686C: D3F30084 0E13B108
	buffer_load_dwordx4 a[76:79], v32, s[92:95], 0 offen offset:3072// 000000006874: E05C1C00 80974C20
	v_mfma_f32_16x16x32_fp8_fp8 v[132:135], a[10:11], v[218:219], v[132:135]// 00000000687C: D3F30084 0E13B50A
	v_mfma_f32_16x16x32_fp8_fp8 v[132:135], a[12:13], v[220:221], v[132:135]// 000000006884: D3F30084 0E13B90C
	buffer_load_dword v27, s[20:23], 0 offen lds               // 00000000688C: E0511000 8005001B
	s_add_u32 m0, 0x400, s50                                   // 000000006894: 807C32FF 00000400
	v_mfma_f32_16x16x32_fp8_fp8 v[132:135], a[14:15], v[222:223], v[132:135]// 00000000689C: D3F30084 0E13BD0E
	v_mfma_f32_16x16x32_fp8_fp8 v[136:139], a[16:17], v[192:193], v[136:139]// 0000000068A4: D3F30088 0E238110
	buffer_load_dwordx4 a[80:83], v33, s[92:95], 0 offen       // 0000000068AC: E05C1000 80975021
	v_mfma_f32_16x16x32_fp8_fp8 v[136:139], a[18:19], v[194:195], v[136:139]// 0000000068B4: D3F30088 0E238512
	v_mfma_f32_16x16x32_fp8_fp8 v[136:139], a[20:21], v[196:197], v[136:139]// 0000000068BC: D3F30088 0E238914
	buffer_load_dword v28, s[20:23], 0 offen lds               // 0000000068C4: E0511000 8005001C
	s_add_u32 m0, 0x500, s50                                   // 0000000068CC: 807C32FF 00000500
	v_mfma_f32_16x16x32_fp8_fp8 v[136:139], a[22:23], v[198:199], v[136:139]// 0000000068D4: D3F30088 0E238D16
	v_mfma_f32_16x16x32_fp8_fp8 v[136:139], a[24:25], v[200:201], v[136:139]// 0000000068DC: D3F30088 0E239118
	buffer_load_dwordx4 a[84:87], v33, s[92:95], 0 offen offset:1024// 0000000068E4: E05C1400 80975421
	v_mfma_f32_16x16x32_fp8_fp8 v[136:139], a[26:27], v[202:203], v[136:139]// 0000000068EC: D3F30088 0E23951A
	v_mfma_f32_16x16x32_fp8_fp8 v[136:139], a[28:29], v[204:205], v[136:139]// 0000000068F4: D3F30088 0E23991C
	buffer_load_dword v29, s[20:23], 0 offen lds               // 0000000068FC: E0511000 8005001D
	s_add_u32 m0, 0x600, s50                                   // 000000006904: 807C32FF 00000600
	v_mfma_f32_16x16x32_fp8_fp8 v[136:139], a[30:31], v[206:207], v[136:139]// 00000000690C: D3F30088 0E239D1E
	v_mfma_f32_16x16x32_fp8_fp8 v[140:143], a[16:17], v[208:209], v[140:143]// 000000006914: D3F3008C 0E33A110
	buffer_load_dwordx4 a[88:91], v33, s[92:95], 0 offen offset:2048// 00000000691C: E05C1800 80975821
	v_mfma_f32_16x16x32_fp8_fp8 v[140:143], a[18:19], v[210:211], v[140:143]// 000000006924: D3F3008C 0E33A512
	v_mfma_f32_16x16x32_fp8_fp8 v[140:143], a[20:21], v[212:213], v[140:143]// 00000000692C: D3F3008C 0E33A914
	buffer_load_dword v30, s[20:23], 0 offen lds               // 000000006934: E0511000 8005001E
	s_add_u32 m0, 0x700, s50                                   // 00000000693C: 807C32FF 00000700
	v_mfma_f32_16x16x32_fp8_fp8 v[140:143], a[22:23], v[214:215], v[140:143]// 000000006944: D3F3008C 0E33AD16
	v_mfma_f32_16x16x32_fp8_fp8 v[140:143], a[24:25], v[216:217], v[140:143]// 00000000694C: D3F3008C 0E33B118
	buffer_load_dwordx4 a[92:95], v33, s[92:95], 0 offen offset:3072// 000000006954: E05C1C00 80975C21
	v_mfma_f32_16x16x32_fp8_fp8 v[140:143], a[26:27], v[218:219], v[140:143]// 00000000695C: D3F3008C 0E33B51A
	v_mfma_f32_16x16x32_fp8_fp8 v[140:143], a[28:29], v[220:221], v[140:143]// 000000006964: D3F3008C 0E33B91C
	buffer_load_dword v31, s[20:23], 0 offen lds               // 00000000696C: E0511000 8005001F
	s_add_u32 m0, 0, s51                                       // 000000006974: 807C3380
	v_mfma_f32_16x16x32_fp8_fp8 v[140:143], a[30:31], v[222:223], v[140:143]// 000000006978: D3F3008C 0E33BD1E
	s_waitcnt vmcnt(20)                                        // 000000006980: BF8C4F74
	v_mfma_f32_16x16x32_fp8_fp8 v[144:147], a[32:33], v[192:193], v[144:147]// 000000006984: D3F30090 0E438120
	buffer_load_dwordx4 a[96:99], v34, s[92:95], 0 offen       // 00000000698C: E05C1000 80976022
	v_mfma_f32_16x16x32_fp8_fp8 v[144:147], a[34:35], v[194:195], v[144:147]// 000000006994: D3F30090 0E438522
	v_mfma_f32_16x16x32_fp8_fp8 v[144:147], a[36:37], v[196:197], v[144:147]// 00000000699C: D3F30090 0E438924
	v_mfma_f32_16x16x32_fp8_fp8 v[144:147], a[38:39], v[198:199], v[144:147]// 0000000069A4: D3F30090 0E438D26
	v_mfma_f32_16x16x32_fp8_fp8 v[144:147], a[40:41], v[200:201], v[144:147]// 0000000069AC: D3F30090 0E439128
	buffer_load_dwordx4 a[100:103], v34, s[92:95], 0 offen offset:1024// 0000000069B4: E05C1400 80976422
	v_mfma_f32_16x16x32_fp8_fp8 v[144:147], a[42:43], v[202:203], v[144:147]// 0000000069BC: D3F30090 0E43952A
	v_mfma_f32_16x16x32_fp8_fp8 v[144:147], a[44:45], v[204:205], v[144:147]// 0000000069C4: D3F30090 0E43992C
	v_mfma_f32_16x16x32_fp8_fp8 v[144:147], a[46:47], v[206:207], v[144:147]// 0000000069CC: D3F30090 0E439D2E
	v_mfma_f32_16x16x32_fp8_fp8 v[148:151], a[32:33], v[208:209], v[148:151]// 0000000069D4: D3F30094 0E53A120
	buffer_load_dwordx4 a[104:107], v34, s[92:95], 0 offen offset:2048// 0000000069DC: E05C1800 80976822
	v_mfma_f32_16x16x32_fp8_fp8 v[148:151], a[34:35], v[210:211], v[148:151]// 0000000069E4: D3F30094 0E53A522
	v_mfma_f32_16x16x32_fp8_fp8 v[148:151], a[36:37], v[212:213], v[148:151]// 0000000069EC: D3F30094 0E53A924
	v_mfma_f32_16x16x32_fp8_fp8 v[148:151], a[38:39], v[214:215], v[148:151]// 0000000069F4: D3F30094 0E53AD26
	v_mfma_f32_16x16x32_fp8_fp8 v[148:151], a[40:41], v[216:217], v[148:151]// 0000000069FC: D3F30094 0E53B128
	buffer_load_dwordx4 a[108:111], v34, s[92:95], 0 offen offset:3072// 000000006A04: E05C1C00 80976C22
	v_mfma_f32_16x16x32_fp8_fp8 v[148:151], a[42:43], v[218:219], v[148:151]// 000000006A0C: D3F30094 0E53B52A
	v_mfma_f32_16x16x32_fp8_fp8 v[148:151], a[44:45], v[220:221], v[148:151]// 000000006A14: D3F30094 0E53B92C
	v_mfma_f32_16x16x32_fp8_fp8 v[148:151], a[46:47], v[222:223], v[148:151]// 000000006A1C: D3F30094 0E53BD2E
	s_waitcnt vmcnt(20)                                        // 000000006A24: BF8C4F74
	v_mfma_f32_16x16x32_fp8_fp8 v[152:155], a[48:49], v[192:193], v[152:155]// 000000006A28: D3F30098 0E638130
	buffer_load_dwordx4 a[112:115], v35, s[92:95], 0 offen     // 000000006A30: E05C1000 80977023
	v_mfma_f32_16x16x32_fp8_fp8 v[152:155], a[50:51], v[194:195], v[152:155]// 000000006A38: D3F30098 0E638532
	v_mfma_f32_16x16x32_fp8_fp8 v[152:155], a[52:53], v[196:197], v[152:155]// 000000006A40: D3F30098 0E638934
	v_mfma_f32_16x16x32_fp8_fp8 v[152:155], a[54:55], v[198:199], v[152:155]// 000000006A48: D3F30098 0E638D36
	v_mfma_f32_16x16x32_fp8_fp8 v[152:155], a[56:57], v[200:201], v[152:155]// 000000006A50: D3F30098 0E639138
	buffer_load_dwordx4 a[116:119], v35, s[92:95], 0 offen offset:1024// 000000006A58: E05C1400 80977423
	v_mfma_f32_16x16x32_fp8_fp8 v[152:155], a[58:59], v[202:203], v[152:155]// 000000006A60: D3F30098 0E63953A
	v_mfma_f32_16x16x32_fp8_fp8 v[152:155], a[60:61], v[204:205], v[152:155]// 000000006A68: D3F30098 0E63993C
	v_mfma_f32_16x16x32_fp8_fp8 v[152:155], a[62:63], v[206:207], v[152:155]// 000000006A70: D3F30098 0E639D3E
	v_mfma_f32_16x16x32_fp8_fp8 v[156:159], a[48:49], v[208:209], v[156:159]// 000000006A78: D3F3009C 0E73A130
	buffer_load_dwordx4 a[120:123], v35, s[92:95], 0 offen offset:2048// 000000006A80: E05C1800 80977823
	v_mfma_f32_16x16x32_fp8_fp8 v[156:159], a[50:51], v[210:211], v[156:159]// 000000006A88: D3F3009C 0E73A532
	v_mfma_f32_16x16x32_fp8_fp8 v[156:159], a[52:53], v[212:213], v[156:159]// 000000006A90: D3F3009C 0E73A934
	v_mfma_f32_16x16x32_fp8_fp8 v[156:159], a[54:55], v[214:215], v[156:159]// 000000006A98: D3F3009C 0E73AD36
	v_mfma_f32_16x16x32_fp8_fp8 v[156:159], a[56:57], v[216:217], v[156:159]// 000000006AA0: D3F3009C 0E73B138
	buffer_load_dwordx4 a[124:127], v35, s[92:95], 0 offen offset:3072// 000000006AA8: E05C1C00 80977C23
	v_mfma_f32_16x16x32_fp8_fp8 v[156:159], a[58:59], v[218:219], v[156:159]// 000000006AB0: D3F3009C 0E73B53A
	v_mfma_f32_16x16x32_fp8_fp8 v[156:159], a[60:61], v[220:221], v[156:159]// 000000006AB8: D3F3009C 0E73B93C
	v_mfma_f32_16x16x32_fp8_fp8 v[156:159], a[62:63], v[222:223], v[156:159]// 000000006AC0: D3F3009C 0E73BD3E
	s_waitcnt vmcnt(8)                                         // 000000006AC8: BF8C0F78
	s_barrier                                                  // 000000006ACC: BF8A0000
	v_mfma_f32_16x16x32_fp8_fp8 v[64:67], a[64:65], v[192:193], v[64:67]// 000000006AD0: D3F30040 0D038140
	buffer_load_dwordx4 a[0:3], v32, s[24:27], 0 offen         // 000000006AD8: E05C1000 80860020
	v_mfma_f32_16x16x32_fp8_fp8 v[64:67], a[66:67], v[194:195], v[64:67]// 000000006AE0: D3F30040 0D038542
	v_mfma_f32_16x16x32_fp8_fp8 v[64:67], a[68:69], v[196:197], v[64:67]// 000000006AE8: D3F30040 0D038944
	v_mfma_f32_16x16x32_fp8_fp8 v[64:67], a[70:71], v[198:199], v[64:67]// 000000006AF0: D3F30040 0D038D46
	v_mfma_f32_16x16x32_fp8_fp8 v[64:67], a[72:73], v[200:201], v[64:67]// 000000006AF8: D3F30040 0D039148
	buffer_load_dwordx4 a[4:7], v32, s[24:27], 0 offen offset:1024// 000000006B00: E05C1400 80860420
	v_mfma_f32_16x16x32_fp8_fp8 v[64:67], a[74:75], v[202:203], v[64:67]// 000000006B08: D3F30040 0D03954A
	v_mfma_f32_16x16x32_fp8_fp8 v[64:67], a[76:77], v[204:205], v[64:67]// 000000006B10: D3F30040 0D03994C
	v_mfma_f32_16x16x32_fp8_fp8 v[64:67], a[78:79], v[206:207], v[64:67]// 000000006B18: D3F30040 0D039D4E
	v_mfma_f32_16x16x32_fp8_fp8 v[68:71], a[64:65], v[208:209], v[68:71]// 000000006B20: D3F30044 0D13A140
	buffer_load_dwordx4 a[8:11], v32, s[24:27], 0 offen offset:2048// 000000006B28: E05C1800 80860820
	v_mfma_f32_16x16x32_fp8_fp8 v[68:71], a[66:67], v[210:211], v[68:71]// 000000006B30: D3F30044 0D13A542
	v_mfma_f32_16x16x32_fp8_fp8 v[68:71], a[68:69], v[212:213], v[68:71]// 000000006B38: D3F30044 0D13A944
	v_mfma_f32_16x16x32_fp8_fp8 v[68:71], a[70:71], v[214:215], v[68:71]// 000000006B40: D3F30044 0D13AD46
	v_mfma_f32_16x16x32_fp8_fp8 v[68:71], a[72:73], v[216:217], v[68:71]// 000000006B48: D3F30044 0D13B148
	buffer_load_dwordx4 a[12:15], v32, s[24:27], 0 offen offset:3072// 000000006B50: E05C1C00 80860C20
	v_mfma_f32_16x16x32_fp8_fp8 v[68:71], a[74:75], v[218:219], v[68:71]// 000000006B58: D3F30044 0D13B54A
	v_mfma_f32_16x16x32_fp8_fp8 v[68:71], a[76:77], v[220:221], v[68:71]// 000000006B60: D3F30044 0D13B94C
	v_mfma_f32_16x16x32_fp8_fp8 v[68:71], a[78:79], v[222:223], v[68:71]// 000000006B68: D3F30044 0D13BD4E
	v_mfma_f32_16x16x32_fp8_fp8 v[72:75], a[80:81], v[192:193], v[72:75]// 000000006B70: D3F30048 0D238150
	buffer_load_dwordx4 a[16:19], v33, s[24:27], 0 offen       // 000000006B78: E05C1000 80861021
	v_mfma_f32_16x16x32_fp8_fp8 v[72:75], a[82:83], v[194:195], v[72:75]// 000000006B80: D3F30048 0D238552
	v_mfma_f32_16x16x32_fp8_fp8 v[72:75], a[84:85], v[196:197], v[72:75]// 000000006B88: D3F30048 0D238954
	v_mfma_f32_16x16x32_fp8_fp8 v[72:75], a[86:87], v[198:199], v[72:75]// 000000006B90: D3F30048 0D238D56
	v_mfma_f32_16x16x32_fp8_fp8 v[72:75], a[88:89], v[200:201], v[72:75]// 000000006B98: D3F30048 0D239158
	buffer_load_dwordx4 a[20:23], v33, s[24:27], 0 offen offset:1024// 000000006BA0: E05C1400 80861421
	v_mfma_f32_16x16x32_fp8_fp8 v[72:75], a[90:91], v[202:203], v[72:75]// 000000006BA8: D3F30048 0D23955A
	v_mfma_f32_16x16x32_fp8_fp8 v[72:75], a[92:93], v[204:205], v[72:75]// 000000006BB0: D3F30048 0D23995C
	v_mfma_f32_16x16x32_fp8_fp8 v[72:75], a[94:95], v[206:207], v[72:75]// 000000006BB8: D3F30048 0D239D5E
	v_mfma_f32_16x16x32_fp8_fp8 v[76:79], a[80:81], v[208:209], v[76:79]// 000000006BC0: D3F3004C 0D33A150
	buffer_load_dwordx4 a[24:27], v33, s[24:27], 0 offen offset:2048// 000000006BC8: E05C1800 80861821
	v_mfma_f32_16x16x32_fp8_fp8 v[76:79], a[82:83], v[210:211], v[76:79]// 000000006BD0: D3F3004C 0D33A552
	v_mfma_f32_16x16x32_fp8_fp8 v[76:79], a[84:85], v[212:213], v[76:79]// 000000006BD8: D3F3004C 0D33A954
	v_mfma_f32_16x16x32_fp8_fp8 v[76:79], a[86:87], v[214:215], v[76:79]// 000000006BE0: D3F3004C 0D33AD56
	v_mfma_f32_16x16x32_fp8_fp8 v[76:79], a[88:89], v[216:217], v[76:79]// 000000006BE8: D3F3004C 0D33B158
	buffer_load_dwordx4 a[28:31], v33, s[24:27], 0 offen offset:3072// 000000006BF0: E05C1C00 80861C21
	v_mfma_f32_16x16x32_fp8_fp8 v[76:79], a[90:91], v[218:219], v[76:79]// 000000006BF8: D3F3004C 0D33B55A
	v_mfma_f32_16x16x32_fp8_fp8 v[76:79], a[92:93], v[220:221], v[76:79]// 000000006C00: D3F3004C 0D33B95C
	v_mfma_f32_16x16x32_fp8_fp8 v[76:79], a[94:95], v[222:223], v[76:79]// 000000006C08: D3F3004C 0D33BD5E
	s_waitcnt vmcnt(12)                                        // 000000006C10: BF8C0F7C
	v_mfma_f32_16x16x32_fp8_fp8 v[80:83], a[96:97], v[192:193], v[80:83]// 000000006C14: D3F30050 0D438160
	buffer_load_dwordx4 a[32:35], v34, s[24:27], 0 offen       // 000000006C1C: E05C1000 80862022
	v_mfma_f32_16x16x32_fp8_fp8 v[80:83], a[98:99], v[194:195], v[80:83]// 000000006C24: D3F30050 0D438562
	v_mfma_f32_16x16x32_fp8_fp8 v[80:83], a[100:101], v[196:197], v[80:83]// 000000006C2C: D3F30050 0D438964
	ds_read_b128 v[160:163], v2                                // 000000006C34: D9FE0000 A0000002
	v_mfma_f32_16x16x32_fp8_fp8 v[80:83], a[102:103], v[198:199], v[80:83]// 000000006C3C: D3F30050 0D438D66
	v_mfma_f32_16x16x32_fp8_fp8 v[80:83], a[104:105], v[200:201], v[80:83]// 000000006C44: D3F30050 0D439168
	buffer_load_dwordx4 a[36:39], v34, s[24:27], 0 offen offset:1024// 000000006C4C: E05C1400 80862422
	v_mfma_f32_16x16x32_fp8_fp8 v[80:83], a[106:107], v[202:203], v[80:83]// 000000006C54: D3F30050 0D43956A
	v_mfma_f32_16x16x32_fp8_fp8 v[80:83], a[108:109], v[204:205], v[80:83]// 000000006C5C: D3F30050 0D43996C
	ds_read_b128 v[164:167], v2 offset:64                      // 000000006C64: D9FE0040 A4000002
	v_mfma_f32_16x16x32_fp8_fp8 v[80:83], a[110:111], v[206:207], v[80:83]// 000000006C6C: D3F30050 0D439D6E
	v_mfma_f32_16x16x32_fp8_fp8 v[84:87], a[96:97], v[208:209], v[84:87]// 000000006C74: D3F30054 0D53A160
	buffer_load_dwordx4 a[40:43], v34, s[24:27], 0 offen offset:2048// 000000006C7C: E05C1800 80862822
	v_mfma_f32_16x16x32_fp8_fp8 v[84:87], a[98:99], v[210:211], v[84:87]// 000000006C84: D3F30054 0D53A562
	v_mfma_f32_16x16x32_fp8_fp8 v[84:87], a[100:101], v[212:213], v[84:87]// 000000006C8C: D3F30054 0D53A964
	ds_read_b128 v[168:171], v2 offset:128                     // 000000006C94: D9FE0080 A8000002
	v_mfma_f32_16x16x32_fp8_fp8 v[84:87], a[102:103], v[214:215], v[84:87]// 000000006C9C: D3F30054 0D53AD66
	v_mfma_f32_16x16x32_fp8_fp8 v[84:87], a[104:105], v[216:217], v[84:87]// 000000006CA4: D3F30054 0D53B168
	buffer_load_dwordx4 a[44:47], v34, s[24:27], 0 offen offset:3072// 000000006CAC: E05C1C00 80862C22
	v_mfma_f32_16x16x32_fp8_fp8 v[84:87], a[106:107], v[218:219], v[84:87]// 000000006CB4: D3F30054 0D53B56A
	v_mfma_f32_16x16x32_fp8_fp8 v[84:87], a[108:109], v[220:221], v[84:87]// 000000006CBC: D3F30054 0D53B96C
	ds_read_b128 v[172:175], v2 offset:192                     // 000000006CC4: D9FE00C0 AC000002
	v_mfma_f32_16x16x32_fp8_fp8 v[84:87], a[110:111], v[222:223], v[84:87]// 000000006CCC: D3F30054 0D53BD6E
	s_waitcnt vmcnt(12)                                        // 000000006CD4: BF8C0F7C
	v_mfma_f32_16x16x32_fp8_fp8 v[88:91], a[112:113], v[192:193], v[88:91]// 000000006CD8: D3F30058 0D638170
	buffer_load_dwordx4 a[48:51], v35, s[24:27], 0 offen       // 000000006CE0: E05C1000 80863023
	v_mfma_f32_16x16x32_fp8_fp8 v[88:91], a[114:115], v[194:195], v[88:91]// 000000006CE8: D3F30058 0D638572
	v_mfma_f32_16x16x32_fp8_fp8 v[88:91], a[116:117], v[196:197], v[88:91]// 000000006CF0: D3F30058 0D638974
	ds_read_b128 v[176:179], v2 offset:1024                    // 000000006CF8: D9FE0400 B0000002
	v_mfma_f32_16x16x32_fp8_fp8 v[88:91], a[118:119], v[198:199], v[88:91]// 000000006D00: D3F30058 0D638D76
	v_mfma_f32_16x16x32_fp8_fp8 v[88:91], a[120:121], v[200:201], v[88:91]// 000000006D08: D3F30058 0D639178
	buffer_load_dwordx4 a[52:55], v35, s[24:27], 0 offen offset:1024// 000000006D10: E05C1400 80863423
	v_mfma_f32_16x16x32_fp8_fp8 v[88:91], a[122:123], v[202:203], v[88:91]// 000000006D18: D3F30058 0D63957A
	v_mfma_f32_16x16x32_fp8_fp8 v[88:91], a[124:125], v[204:205], v[88:91]// 000000006D20: D3F30058 0D63997C
	ds_read_b128 v[180:183], v2 offset:1088                    // 000000006D28: D9FE0440 B4000002
	v_mfma_f32_16x16x32_fp8_fp8 v[88:91], a[126:127], v[206:207], v[88:91]// 000000006D30: D3F30058 0D639D7E
	v_mfma_f32_16x16x32_fp8_fp8 v[92:95], a[112:113], v[208:209], v[92:95]// 000000006D38: D3F3005C 0D73A170
	buffer_load_dwordx4 a[56:59], v35, s[24:27], 0 offen offset:2048// 000000006D40: E05C1800 80863823
	v_mfma_f32_16x16x32_fp8_fp8 v[92:95], a[114:115], v[210:211], v[92:95]// 000000006D48: D3F3005C 0D73A572
	v_mfma_f32_16x16x32_fp8_fp8 v[92:95], a[116:117], v[212:213], v[92:95]// 000000006D50: D3F3005C 0D73A974
	ds_read_b128 v[184:187], v2 offset:1152                    // 000000006D58: D9FE0480 B8000002
	v_mfma_f32_16x16x32_fp8_fp8 v[92:95], a[118:119], v[214:215], v[92:95]// 000000006D60: D3F3005C 0D73AD76
	v_mfma_f32_16x16x32_fp8_fp8 v[92:95], a[120:121], v[216:217], v[92:95]// 000000006D68: D3F3005C 0D73B178
	buffer_load_dwordx4 a[60:63], v35, s[24:27], 0 offen offset:3072// 000000006D70: E05C1C00 80863C23
	v_mfma_f32_16x16x32_fp8_fp8 v[92:95], a[122:123], v[218:219], v[92:95]// 000000006D78: D3F3005C 0D73B57A
	v_mfma_f32_16x16x32_fp8_fp8 v[92:95], a[124:125], v[220:221], v[92:95]// 000000006D80: D3F3005C 0D73B97C
	ds_read_b128 v[188:191], v2 offset:1216                    // 000000006D88: D9FE04C0 BC000002
	v_mfma_f32_16x16x32_fp8_fp8 v[92:95], a[126:127], v[222:223], v[92:95]// 000000006D90: D3F3005C 0D73BD7E
	s_add_u32 s60, 0x200, s80                                  // 000000006D98: 803C50FF 00000200
	s_cmp_lt_u32 s60, s81                                      // 000000006DA0: BF0A513C
	s_cselect_b32 s57, s57, 0                                  // 000000006DA4: 85398039
	s_add_u32 s60, 0x200, s80                                  // 000000006DA8: 803C50FF 00000200
	s_cmp_lt_u32 s60, s81                                      // 000000006DB0: BF0A513C
	s_cselect_b32 s58, s58, 0                                  // 000000006DB4: 853A803A
	s_add_u32 s20, s57, s20                                    // 000000006DB8: 80141439
	s_addc_u32 s21, 0, s21                                     // 000000006DBC: 82151580
	s_add_u32 s24, s58, s24                                    // 000000006DC0: 8018183A
	s_addc_u32 s25, 0, s25                                     // 000000006DC4: 82191980
	s_add_u32 s92, s90, s92                                    // 000000006DC8: 805C5C5A
	s_addc_u32 s93, 0, s93                                     // 000000006DCC: 825D5D80
	s_addk_i32 s80, 0x100                                      // 000000006DD0: B7500100
	s_cmp_lt_i32 s80, s81                                      // 000000006DD4: BF045150
	s_cbranch_scc0 label_0FF8                                  // 000000006DD8: BF840001
	s_branch label_0CE7                                        // 000000006DDC: BF82FCEF

0000000000006de0 <label_0FF8>:
	s_mov_b32 s36, -1                                          // 000000006DE0: BEA400C1
	s_mov_b32 s37, -1                                          // 000000006DE4: BEA500C1
	s_mov_b64 s[60:61], 0                                      // 000000006DE8: BEBC0180
	s_cmp_lt_u32 s82, s66                                      // 000000006DEC: BF0A4252
	s_cselect_b64 s[20:21], s[36:37], s[60:61]                 // 000000006DF0: 85943C24
	s_cmp_lt_u32 s83, s66                                      // 000000006DF4: BF0A4253
	s_cselect_b64 s[22:23], s[36:37], s[60:61]                 // 000000006DF8: 85963C24
	s_cmp_lt_u32 s84, s66                                      // 000000006DFC: BF0A4254
	s_cselect_b64 s[24:25], s[36:37], s[60:61]                 // 000000006E00: 85983C24
	s_cmp_lt_u32 s85, s66                                      // 000000006E04: BF0A4255
	s_cselect_b64 s[26:27], s[36:37], s[60:61]                 // 000000006E08: 859A3C24
	s_cmp_lt_u32 s86, s66                                      // 000000006E0C: BF0A4256
	s_cselect_b64 s[28:29], s[36:37], s[60:61]                 // 000000006E10: 859C3C24
	s_cmp_lt_u32 s87, s66                                      // 000000006E14: BF0A4257
	s_cselect_b64 s[30:31], s[36:37], s[60:61]                 // 000000006E18: 859E3C24
	s_cmp_lt_u32 s88, s66                                      // 000000006E1C: BF0A4258
	s_cselect_b64 s[32:33], s[36:37], s[60:61]                 // 000000006E20: 85A03C24
	s_cmp_lt_u32 s89, s66                                      // 000000006E24: BF0A4259
	s_cselect_b64 s[34:35], s[36:37], s[60:61]                 // 000000006E28: 85A23C24
	v_mul_f32_e32 v128, v13, v128                              // 000000006E2C: 0B01010D
	v_mul_f32_e32 v129, v13, v129                              // 000000006E30: 0B03030D
	v_mul_f32_e32 v130, v13, v130                              // 000000006E34: 0B05050D
	v_mul_f32_e32 v131, v13, v131                              // 000000006E38: 0B07070D
	v_mul_f32_dpp v128, v15, v128 row_newbcast:0 row_mask:0xf bank_mask:0xf// 000000006E3C: 0B0100FA FF01500F
	v_mul_f32_dpp v129, v15, v129 row_newbcast:1 row_mask:0xf bank_mask:0xf// 000000006E44: 0B0302FA FF01510F
	v_mul_f32_dpp v130, v15, v130 row_newbcast:2 row_mask:0xf bank_mask:0xf// 000000006E4C: 0B0504FA FF01520F
	v_mul_f32_dpp v131, v15, v131 row_newbcast:3 row_mask:0xf bank_mask:0xf// 000000006E54: 0B0706FA FF01530F
	v_mul_f32_e32 v132, v14, v132                              // 000000006E5C: 0B09090E
	v_mul_f32_e32 v133, v14, v133                              // 000000006E60: 0B0B0B0E
	v_mul_f32_e32 v134, v14, v134                              // 000000006E64: 0B0D0D0E
	v_mul_f32_e32 v135, v14, v135                              // 000000006E68: 0B0F0F0E
	v_mul_f32_dpp v132, v15, v132 row_newbcast:0 row_mask:0xf bank_mask:0xf// 000000006E6C: 0B0908FA FF01500F
	v_mul_f32_dpp v133, v15, v133 row_newbcast:1 row_mask:0xf bank_mask:0xf// 000000006E74: 0B0B0AFA FF01510F
	v_mul_f32_dpp v134, v15, v134 row_newbcast:2 row_mask:0xf bank_mask:0xf// 000000006E7C: 0B0D0CFA FF01520F
	v_mul_f32_dpp v135, v15, v135 row_newbcast:3 row_mask:0xf bank_mask:0xf// 000000006E84: 0B0F0EFA FF01530F
	v_mul_f32_e32 v136, v13, v136                              // 000000006E8C: 0B11110D
	v_mul_f32_e32 v137, v13, v137                              // 000000006E90: 0B13130D
	v_mul_f32_e32 v138, v13, v138                              // 000000006E94: 0B15150D
	v_mul_f32_e32 v139, v13, v139                              // 000000006E98: 0B17170D
	v_mul_f32_dpp v136, v15, v136 row_newbcast:4 row_mask:0xf bank_mask:0xf// 000000006E9C: 0B1110FA FF01540F
	v_mul_f32_dpp v137, v15, v137 row_newbcast:5 row_mask:0xf bank_mask:0xf// 000000006EA4: 0B1312FA FF01550F
	v_mul_f32_dpp v138, v15, v138 row_newbcast:6 row_mask:0xf bank_mask:0xf// 000000006EAC: 0B1514FA FF01560F
	v_mul_f32_dpp v139, v15, v139 row_newbcast:7 row_mask:0xf bank_mask:0xf// 000000006EB4: 0B1716FA FF01570F
	v_mul_f32_e32 v140, v14, v140                              // 000000006EBC: 0B19190E
	v_mul_f32_e32 v141, v14, v141                              // 000000006EC0: 0B1B1B0E
	v_mul_f32_e32 v142, v14, v142                              // 000000006EC4: 0B1D1D0E
	v_mul_f32_e32 v143, v14, v143                              // 000000006EC8: 0B1F1F0E
	v_mul_f32_dpp v140, v15, v140 row_newbcast:4 row_mask:0xf bank_mask:0xf// 000000006ECC: 0B1918FA FF01540F
	v_mul_f32_dpp v141, v15, v141 row_newbcast:5 row_mask:0xf bank_mask:0xf// 000000006ED4: 0B1B1AFA FF01550F
	v_mul_f32_dpp v142, v15, v142 row_newbcast:6 row_mask:0xf bank_mask:0xf// 000000006EDC: 0B1D1CFA FF01560F
	v_mul_f32_dpp v143, v15, v143 row_newbcast:7 row_mask:0xf bank_mask:0xf// 000000006EE4: 0B1F1EFA FF01570F
	v_mul_f32_e32 v144, v13, v144                              // 000000006EEC: 0B21210D
	v_mul_f32_e32 v145, v13, v145                              // 000000006EF0: 0B23230D
	v_mul_f32_e32 v146, v13, v146                              // 000000006EF4: 0B25250D
	v_mul_f32_e32 v147, v13, v147                              // 000000006EF8: 0B27270D
	v_mul_f32_dpp v144, v15, v144 row_newbcast:8 row_mask:0xf bank_mask:0xf// 000000006EFC: 0B2120FA FF01580F
	v_mul_f32_dpp v145, v15, v145 row_newbcast:9 row_mask:0xf bank_mask:0xf// 000000006F04: 0B2322FA FF01590F
	v_mul_f32_dpp v146, v15, v146 row_newbcast:10 row_mask:0xf bank_mask:0xf// 000000006F0C: 0B2524FA FF015A0F
	v_mul_f32_dpp v147, v15, v147 row_newbcast:11 row_mask:0xf bank_mask:0xf// 000000006F14: 0B2726FA FF015B0F
	v_mul_f32_e32 v148, v14, v148                              // 000000006F1C: 0B29290E
	v_mul_f32_e32 v149, v14, v149                              // 000000006F20: 0B2B2B0E
	v_mul_f32_e32 v150, v14, v150                              // 000000006F24: 0B2D2D0E
	v_mul_f32_e32 v151, v14, v151                              // 000000006F28: 0B2F2F0E
	v_mul_f32_dpp v148, v15, v148 row_newbcast:8 row_mask:0xf bank_mask:0xf// 000000006F2C: 0B2928FA FF01580F
	v_mul_f32_dpp v149, v15, v149 row_newbcast:9 row_mask:0xf bank_mask:0xf// 000000006F34: 0B2B2AFA FF01590F
	v_mul_f32_dpp v150, v15, v150 row_newbcast:10 row_mask:0xf bank_mask:0xf// 000000006F3C: 0B2D2CFA FF015A0F
	v_mul_f32_dpp v151, v15, v151 row_newbcast:11 row_mask:0xf bank_mask:0xf// 000000006F44: 0B2F2EFA FF015B0F
	v_mul_f32_e32 v152, v13, v152                              // 000000006F4C: 0B31310D
	v_mul_f32_e32 v153, v13, v153                              // 000000006F50: 0B33330D
	v_mul_f32_e32 v154, v13, v154                              // 000000006F54: 0B35350D
	v_mul_f32_e32 v155, v13, v155                              // 000000006F58: 0B37370D
	v_mul_f32_dpp v152, v15, v152 row_newbcast:12 row_mask:0xf bank_mask:0xf// 000000006F5C: 0B3130FA FF015C0F
	v_mul_f32_dpp v153, v15, v153 row_newbcast:13 row_mask:0xf bank_mask:0xf// 000000006F64: 0B3332FA FF015D0F
	v_mul_f32_dpp v154, v15, v154 row_newbcast:14 row_mask:0xf bank_mask:0xf// 000000006F6C: 0B3534FA FF015E0F
	v_mul_f32_dpp v155, v15, v155 row_newbcast:15 row_mask:0xf bank_mask:0xf// 000000006F74: 0B3736FA FF015F0F
	v_mul_f32_e32 v156, v14, v156                              // 000000006F7C: 0B39390E
	v_mul_f32_e32 v157, v14, v157                              // 000000006F80: 0B3B3B0E
	v_mul_f32_e32 v158, v14, v158                              // 000000006F84: 0B3D3D0E
	v_mul_f32_e32 v159, v14, v159                              // 000000006F88: 0B3F3F0E
	v_mul_f32_dpp v156, v15, v156 row_newbcast:12 row_mask:0xf bank_mask:0xf// 000000006F8C: 0B3938FA FF015C0F
	v_mul_f32_dpp v157, v15, v157 row_newbcast:13 row_mask:0xf bank_mask:0xf// 000000006F94: 0B3B3AFA FF015D0F
	v_mul_f32_dpp v158, v15, v158 row_newbcast:14 row_mask:0xf bank_mask:0xf// 000000006F9C: 0B3D3CFA FF015E0F
	v_mul_f32_dpp v159, v15, v159 row_newbcast:15 row_mask:0xf bank_mask:0xf// 000000006FA4: 0B3F3EFA FF015F0F
	v_mul_f32_e32 v64, v13, v64                                // 000000006FAC: 0A80810D
	v_mul_f32_e32 v65, v13, v65                                // 000000006FB0: 0A82830D
	v_mul_f32_e32 v66, v13, v66                                // 000000006FB4: 0A84850D
	v_mul_f32_e32 v67, v13, v67                                // 000000006FB8: 0A86870D
	v_mul_f32_dpp v64, v44, v64 row_newbcast:0 row_mask:0xf bank_mask:0xf// 000000006FBC: 0A8080FA FF01502C
	v_mul_f32_dpp v65, v44, v65 row_newbcast:1 row_mask:0xf bank_mask:0xf// 000000006FC4: 0A8282FA FF01512C
	v_mul_f32_dpp v66, v44, v66 row_newbcast:2 row_mask:0xf bank_mask:0xf// 000000006FCC: 0A8484FA FF01522C
	v_mul_f32_dpp v67, v44, v67 row_newbcast:3 row_mask:0xf bank_mask:0xf// 000000006FD4: 0A8686FA FF01532C
	v_mul_f32_e32 v68, v14, v68                                // 000000006FDC: 0A88890E
	v_mul_f32_e32 v69, v14, v69                                // 000000006FE0: 0A8A8B0E
	v_mul_f32_e32 v70, v14, v70                                // 000000006FE4: 0A8C8D0E
	v_mul_f32_e32 v71, v14, v71                                // 000000006FE8: 0A8E8F0E
	v_mul_f32_dpp v68, v44, v68 row_newbcast:0 row_mask:0xf bank_mask:0xf// 000000006FEC: 0A8888FA FF01502C
	v_mul_f32_dpp v69, v44, v69 row_newbcast:1 row_mask:0xf bank_mask:0xf// 000000006FF4: 0A8A8AFA FF01512C
	v_mul_f32_dpp v70, v44, v70 row_newbcast:2 row_mask:0xf bank_mask:0xf// 000000006FFC: 0A8C8CFA FF01522C
	v_mul_f32_dpp v71, v44, v71 row_newbcast:3 row_mask:0xf bank_mask:0xf// 000000007004: 0A8E8EFA FF01532C
	v_mul_f32_e32 v72, v13, v72                                // 00000000700C: 0A90910D
	v_mul_f32_e32 v73, v13, v73                                // 000000007010: 0A92930D
	v_mul_f32_e32 v74, v13, v74                                // 000000007014: 0A94950D
	v_mul_f32_e32 v75, v13, v75                                // 000000007018: 0A96970D
	v_mul_f32_dpp v72, v44, v72 row_newbcast:4 row_mask:0xf bank_mask:0xf// 00000000701C: 0A9090FA FF01542C
	v_mul_f32_dpp v73, v44, v73 row_newbcast:5 row_mask:0xf bank_mask:0xf// 000000007024: 0A9292FA FF01552C
	v_mul_f32_dpp v74, v44, v74 row_newbcast:6 row_mask:0xf bank_mask:0xf// 00000000702C: 0A9494FA FF01562C
	v_mul_f32_dpp v75, v44, v75 row_newbcast:7 row_mask:0xf bank_mask:0xf// 000000007034: 0A9696FA FF01572C
	v_mul_f32_e32 v76, v14, v76                                // 00000000703C: 0A98990E
	v_mul_f32_e32 v77, v14, v77                                // 000000007040: 0A9A9B0E
	v_mul_f32_e32 v78, v14, v78                                // 000000007044: 0A9C9D0E
	v_mul_f32_e32 v79, v14, v79                                // 000000007048: 0A9E9F0E
	v_mul_f32_dpp v76, v44, v76 row_newbcast:4 row_mask:0xf bank_mask:0xf// 00000000704C: 0A9898FA FF01542C
	v_mul_f32_dpp v77, v44, v77 row_newbcast:5 row_mask:0xf bank_mask:0xf// 000000007054: 0A9A9AFA FF01552C
	v_mul_f32_dpp v78, v44, v78 row_newbcast:6 row_mask:0xf bank_mask:0xf// 00000000705C: 0A9C9CFA FF01562C
	v_mul_f32_dpp v79, v44, v79 row_newbcast:7 row_mask:0xf bank_mask:0xf// 000000007064: 0A9E9EFA FF01572C
	v_mul_f32_e32 v80, v13, v80                                // 00000000706C: 0AA0A10D
	v_mul_f32_e32 v81, v13, v81                                // 000000007070: 0AA2A30D
	v_mul_f32_e32 v82, v13, v82                                // 000000007074: 0AA4A50D
	v_mul_f32_e32 v83, v13, v83                                // 000000007078: 0AA6A70D
	v_mul_f32_dpp v80, v44, v80 row_newbcast:8 row_mask:0xf bank_mask:0xf// 00000000707C: 0AA0A0FA FF01582C
	v_mul_f32_dpp v81, v44, v81 row_newbcast:9 row_mask:0xf bank_mask:0xf// 000000007084: 0AA2A2FA FF01592C
	v_mul_f32_dpp v82, v44, v82 row_newbcast:10 row_mask:0xf bank_mask:0xf// 00000000708C: 0AA4A4FA FF015A2C
	v_mul_f32_dpp v83, v44, v83 row_newbcast:11 row_mask:0xf bank_mask:0xf// 000000007094: 0AA6A6FA FF015B2C
	v_mul_f32_e32 v84, v14, v84                                // 00000000709C: 0AA8A90E
	v_mul_f32_e32 v85, v14, v85                                // 0000000070A0: 0AAAAB0E
	v_mul_f32_e32 v86, v14, v86                                // 0000000070A4: 0AACAD0E
	v_mul_f32_e32 v87, v14, v87                                // 0000000070A8: 0AAEAF0E
	v_mul_f32_dpp v84, v44, v84 row_newbcast:8 row_mask:0xf bank_mask:0xf// 0000000070AC: 0AA8A8FA FF01582C
	v_mul_f32_dpp v85, v44, v85 row_newbcast:9 row_mask:0xf bank_mask:0xf// 0000000070B4: 0AAAAAFA FF01592C
	v_mul_f32_dpp v86, v44, v86 row_newbcast:10 row_mask:0xf bank_mask:0xf// 0000000070BC: 0AACACFA FF015A2C
	v_mul_f32_dpp v87, v44, v87 row_newbcast:11 row_mask:0xf bank_mask:0xf// 0000000070C4: 0AAEAEFA FF015B2C
	v_mul_f32_e32 v88, v13, v88                                // 0000000070CC: 0AB0B10D
	v_mul_f32_e32 v89, v13, v89                                // 0000000070D0: 0AB2B30D
	v_mul_f32_e32 v90, v13, v90                                // 0000000070D4: 0AB4B50D
	v_mul_f32_e32 v91, v13, v91                                // 0000000070D8: 0AB6B70D
	v_mul_f32_dpp v88, v44, v88 row_newbcast:12 row_mask:0xf bank_mask:0xf// 0000000070DC: 0AB0B0FA FF015C2C
	v_mul_f32_dpp v89, v44, v89 row_newbcast:13 row_mask:0xf bank_mask:0xf// 0000000070E4: 0AB2B2FA FF015D2C
	v_mul_f32_dpp v90, v44, v90 row_newbcast:14 row_mask:0xf bank_mask:0xf// 0000000070EC: 0AB4B4FA FF015E2C
	v_mul_f32_dpp v91, v44, v91 row_newbcast:15 row_mask:0xf bank_mask:0xf// 0000000070F4: 0AB6B6FA FF015F2C
	v_mul_f32_e32 v92, v14, v92                                // 0000000070FC: 0AB8B90E
	v_mul_f32_e32 v93, v14, v93                                // 000000007100: 0ABABB0E
	v_mul_f32_e32 v94, v14, v94                                // 000000007104: 0ABCBD0E
	v_mul_f32_e32 v95, v14, v95                                // 000000007108: 0ABEBF0E
	v_mul_f32_dpp v92, v44, v92 row_newbcast:12 row_mask:0xf bank_mask:0xf// 00000000710C: 0AB8B8FA FF015C2C
	v_mul_f32_dpp v93, v44, v93 row_newbcast:13 row_mask:0xf bank_mask:0xf// 000000007114: 0ABABAFA FF015D2C
	v_mul_f32_dpp v94, v44, v94 row_newbcast:14 row_mask:0xf bank_mask:0xf// 00000000711C: 0ABCBCFA FF015E2C
	v_mul_f32_dpp v95, v44, v95 row_newbcast:15 row_mask:0xf bank_mask:0xf// 000000007124: 0ABEBEFA FF015F2C
	s_waitcnt vmcnt(12)                                        // 00000000712C: BF8C0F7C
	buffer_load_dwordx4 a[0:3], v36, s[12:15], 0 offen         // 000000007130: E05C1000 80830024
	v_mul_f32_e32 v46, v128, v128                              // 000000007138: 0A5D0180
	v_mul_f32_e32 v47, v129, v129                              // 00000000713C: 0A5F0381
	v_mul_f32_e32 v48, v130, v130                              // 000000007140: 0A610582
	v_mul_f32_e32 v49, v131, v131                              // 000000007144: 0A630783
	v_fma_f32 v46, v46, s77, v1                                // 000000007148: D1CB002E 04049B2E
	v_fma_f32 v47, v47, s77, v1                                // 000000007150: D1CB002F 04049B2F
	v_fma_f32 v48, v48, s77, v1                                // 000000007158: D1CB0030 04049B30
	v_fma_f32 v49, v49, s77, v1                                // 000000007160: D1CB0031 04049B31
	v_mul_f32_e32 v46, v46, v128                               // 000000007168: 0A5D012E
	v_mul_f32_e32 v47, v47, v129                               // 00000000716C: 0A5F032F
	v_mul_f32_e32 v48, v48, v130                               // 000000007170: 0A610530
	v_mul_f32_e32 v49, v49, v131                               // 000000007174: 0A630731
	v_mul_f32_e64 v46, v46, s6                                 // 000000007178: D105002E 00000D2E
	v_mul_f32_e64 v47, v47, s6                                 // 000000007180: D105002F 00000D2F
	v_mul_f32_e64 v48, v48, s6                                 // 000000007188: D1050030 00000D30
	v_mul_f32_e64 v49, v49, s6                                 // 000000007190: D1050031 00000D31
	v_exp_f32_e32 v46, v46                                     // 000000007198: 7E5C412E
	v_exp_f32_e32 v47, v47                                     // 00000000719C: 7E5E412F
	v_exp_f32_e32 v48, v48                                     // 0000000071A0: 7E604130
	v_exp_f32_e32 v49, v49                                     // 0000000071A4: 7E624131
	buffer_load_dwordx4 a[4:7], v37, s[12:15], 0 offen         // 0000000071A8: E05C1000 80830425
	v_add_f32_e64 v46, v46, 1.0                                // 0000000071B0: D101002E 0001E52E
	v_add_f32_e64 v47, v47, 1.0                                // 0000000071B8: D101002F 0001E52F
	v_add_f32_e64 v48, v48, 1.0                                // 0000000071C0: D1010030 0001E530
	v_add_f32_e64 v49, v49, 1.0                                // 0000000071C8: D1010031 0001E531
	v_rcp_f32_e32 v46, v46                                     // 0000000071D0: 7E5C452E
	v_rcp_f32_e32 v47, v47                                     // 0000000071D4: 7E5E452F
	v_rcp_f32_e32 v48, v48                                     // 0000000071D8: 7E604530
	v_rcp_f32_e32 v49, v49                                     // 0000000071DC: 7E624531
	v_mul_f32_e32 v128, v128, v46                              // 0000000071E0: 0B005D80
	v_mul_f32_e32 v129, v129, v47                              // 0000000071E4: 0B025F81
	v_mul_f32_e32 v130, v130, v48                              // 0000000071E8: 0B046182
	v_mul_f32_e32 v131, v131, v49                              // 0000000071EC: 0B066383
	v_mul_f32_e32 v128, v128, v64                              // 0000000071F0: 0B008180
	v_mul_f32_e32 v129, v129, v65                              // 0000000071F4: 0B028381
	v_mul_f32_e32 v130, v130, v66                              // 0000000071F8: 0B048582
	v_mul_f32_e32 v131, v131, v67                              // 0000000071FC: 0B068783
	buffer_load_dwordx4 a[8:11], v38, s[12:15], 0 offen        // 000000007200: E05C1000 80830826
	v_mul_f32_e32 v46, v132, v132                              // 000000007208: 0A5D0984
	v_mul_f32_e32 v47, v133, v133                              // 00000000720C: 0A5F0B85
	v_mul_f32_e32 v48, v134, v134                              // 000000007210: 0A610D86
	v_mul_f32_e32 v49, v135, v135                              // 000000007214: 0A630F87
	v_fma_f32 v46, v46, s77, v1                                // 000000007218: D1CB002E 04049B2E
	v_fma_f32 v47, v47, s77, v1                                // 000000007220: D1CB002F 04049B2F
	v_fma_f32 v48, v48, s77, v1                                // 000000007228: D1CB0030 04049B30
	v_fma_f32 v49, v49, s77, v1                                // 000000007230: D1CB0031 04049B31
	v_mul_f32_e32 v46, v46, v132                               // 000000007238: 0A5D092E
	v_mul_f32_e32 v47, v47, v133                               // 00000000723C: 0A5F0B2F
	v_mul_f32_e32 v48, v48, v134                               // 000000007240: 0A610D30
	v_mul_f32_e32 v49, v49, v135                               // 000000007244: 0A630F31
	v_mul_f32_e64 v46, v46, s6                                 // 000000007248: D105002E 00000D2E
	v_mul_f32_e64 v47, v47, s6                                 // 000000007250: D105002F 00000D2F
	v_mul_f32_e64 v48, v48, s6                                 // 000000007258: D1050030 00000D30
	v_mul_f32_e64 v49, v49, s6                                 // 000000007260: D1050031 00000D31
	v_exp_f32_e32 v46, v46                                     // 000000007268: 7E5C412E
	v_exp_f32_e32 v47, v47                                     // 00000000726C: 7E5E412F
	v_exp_f32_e32 v48, v48                                     // 000000007270: 7E604130
	v_exp_f32_e32 v49, v49                                     // 000000007274: 7E624131
	buffer_load_dwordx4 a[12:15], v39, s[12:15], 0 offen       // 000000007278: E05C1000 80830C27
	s_add_u32 s12, s78, s12                                    // 000000007280: 800C0C4E
	s_addc_u32 s13, 0, s13                                     // 000000007284: 820D0D80
	v_add_f32_e64 v46, v46, 1.0                                // 000000007288: D101002E 0001E52E
	v_add_f32_e64 v47, v47, 1.0                                // 000000007290: D101002F 0001E52F
	v_add_f32_e64 v48, v48, 1.0                                // 000000007298: D1010030 0001E530
	v_add_f32_e64 v49, v49, 1.0                                // 0000000072A0: D1010031 0001E531
	v_rcp_f32_e32 v46, v46                                     // 0000000072A8: 7E5C452E
	v_rcp_f32_e32 v47, v47                                     // 0000000072AC: 7E5E452F
	v_rcp_f32_e32 v48, v48                                     // 0000000072B0: 7E604530
	v_rcp_f32_e32 v49, v49                                     // 0000000072B4: 7E624531
	v_mul_f32_e32 v132, v132, v46                              // 0000000072B8: 0B085D84
	v_mul_f32_e32 v133, v133, v47                              // 0000000072BC: 0B0A5F85
	v_mul_f32_e32 v134, v134, v48                              // 0000000072C0: 0B0C6186
	v_mul_f32_e32 v135, v135, v49                              // 0000000072C4: 0B0E6387
	v_mul_f32_e32 v132, v132, v68                              // 0000000072C8: 0B088984
	v_mul_f32_e32 v133, v133, v69                              // 0000000072CC: 0B0A8B85
	v_mul_f32_e32 v134, v134, v70                              // 0000000072D0: 0B0C8D86
	v_mul_f32_e32 v135, v135, v71                              // 0000000072D4: 0B0E8F87
	s_waitcnt vmcnt(12)                                        // 0000000072D8: BF8C0F7C
	buffer_load_dwordx4 a[16:19], v36, s[12:15], 0 offen       // 0000000072DC: E05C1000 80831024
	v_mul_f32_e32 v46, v136, v136                              // 0000000072E4: 0A5D1188
	v_mul_f32_e32 v47, v137, v137                              // 0000000072E8: 0A5F1389
	v_mul_f32_e32 v48, v138, v138                              // 0000000072EC: 0A61158A
	v_mul_f32_e32 v49, v139, v139                              // 0000000072F0: 0A63178B
	v_fma_f32 v46, v46, s77, v1                                // 0000000072F4: D1CB002E 04049B2E
	v_fma_f32 v47, v47, s77, v1                                // 0000000072FC: D1CB002F 04049B2F
	v_fma_f32 v48, v48, s77, v1                                // 000000007304: D1CB0030 04049B30
	v_fma_f32 v49, v49, s77, v1                                // 00000000730C: D1CB0031 04049B31
	v_mul_f32_e32 v46, v46, v136                               // 000000007314: 0A5D112E
	v_mul_f32_e32 v47, v47, v137                               // 000000007318: 0A5F132F
	v_mul_f32_e32 v48, v48, v138                               // 00000000731C: 0A611530
	v_mul_f32_e32 v49, v49, v139                               // 000000007320: 0A631731
	v_mul_f32_e64 v46, v46, s6                                 // 000000007324: D105002E 00000D2E
	v_mul_f32_e64 v47, v47, s6                                 // 00000000732C: D105002F 00000D2F
	v_mul_f32_e64 v48, v48, s6                                 // 000000007334: D1050030 00000D30
	v_mul_f32_e64 v49, v49, s6                                 // 00000000733C: D1050031 00000D31
	v_exp_f32_e32 v46, v46                                     // 000000007344: 7E5C412E
	v_exp_f32_e32 v47, v47                                     // 000000007348: 7E5E412F
	v_exp_f32_e32 v48, v48                                     // 00000000734C: 7E604130
	v_exp_f32_e32 v49, v49                                     // 000000007350: 7E624131
	buffer_load_dwordx4 a[20:23], v37, s[12:15], 0 offen       // 000000007354: E05C1000 80831425
	v_add_f32_e64 v46, v46, 1.0                                // 00000000735C: D101002E 0001E52E
	v_add_f32_e64 v47, v47, 1.0                                // 000000007364: D101002F 0001E52F
	v_add_f32_e64 v48, v48, 1.0                                // 00000000736C: D1010030 0001E530
	v_add_f32_e64 v49, v49, 1.0                                // 000000007374: D1010031 0001E531
	v_rcp_f32_e32 v46, v46                                     // 00000000737C: 7E5C452E
	v_rcp_f32_e32 v47, v47                                     // 000000007380: 7E5E452F
	v_rcp_f32_e32 v48, v48                                     // 000000007384: 7E604530
	v_rcp_f32_e32 v49, v49                                     // 000000007388: 7E624531
	v_mul_f32_e32 v136, v136, v46                              // 00000000738C: 0B105D88
	v_mul_f32_e32 v137, v137, v47                              // 000000007390: 0B125F89
	v_mul_f32_e32 v138, v138, v48                              // 000000007394: 0B14618A
	v_mul_f32_e32 v139, v139, v49                              // 000000007398: 0B16638B
	v_mul_f32_e32 v136, v136, v72                              // 00000000739C: 0B109188
	v_mul_f32_e32 v137, v137, v73                              // 0000000073A0: 0B129389
	v_mul_f32_e32 v138, v138, v74                              // 0000000073A4: 0B14958A
	v_mul_f32_e32 v139, v139, v75                              // 0000000073A8: 0B16978B
	buffer_load_dwordx4 a[24:27], v38, s[12:15], 0 offen       // 0000000073AC: E05C1000 80831826
	v_mul_f32_e32 v46, v140, v140                              // 0000000073B4: 0A5D198C
	v_mul_f32_e32 v47, v141, v141                              // 0000000073B8: 0A5F1B8D
	v_mul_f32_e32 v48, v142, v142                              // 0000000073BC: 0A611D8E
	v_mul_f32_e32 v49, v143, v143                              // 0000000073C0: 0A631F8F
	v_fma_f32 v46, v46, s77, v1                                // 0000000073C4: D1CB002E 04049B2E
	v_fma_f32 v47, v47, s77, v1                                // 0000000073CC: D1CB002F 04049B2F
	v_fma_f32 v48, v48, s77, v1                                // 0000000073D4: D1CB0030 04049B30
	v_fma_f32 v49, v49, s77, v1                                // 0000000073DC: D1CB0031 04049B31
	v_mul_f32_e32 v46, v46, v140                               // 0000000073E4: 0A5D192E
	v_mul_f32_e32 v47, v47, v141                               // 0000000073E8: 0A5F1B2F
	v_mul_f32_e32 v48, v48, v142                               // 0000000073EC: 0A611D30
	v_mul_f32_e32 v49, v49, v143                               // 0000000073F0: 0A631F31
	v_mul_f32_e64 v46, v46, s6                                 // 0000000073F4: D105002E 00000D2E
	v_mul_f32_e64 v47, v47, s6                                 // 0000000073FC: D105002F 00000D2F
	v_mul_f32_e64 v48, v48, s6                                 // 000000007404: D1050030 00000D30
	v_mul_f32_e64 v49, v49, s6                                 // 00000000740C: D1050031 00000D31
	v_exp_f32_e32 v46, v46                                     // 000000007414: 7E5C412E
	v_exp_f32_e32 v47, v47                                     // 000000007418: 7E5E412F
	v_exp_f32_e32 v48, v48                                     // 00000000741C: 7E604130
	v_exp_f32_e32 v49, v49                                     // 000000007420: 7E624131
	buffer_load_dwordx4 a[28:31], v39, s[12:15], 0 offen       // 000000007424: E05C1000 80831C27
	s_add_u32 s12, s78, s12                                    // 00000000742C: 800C0C4E
	s_addc_u32 s13, 0, s13                                     // 000000007430: 820D0D80
	v_add_f32_e64 v46, v46, 1.0                                // 000000007434: D101002E 0001E52E
	v_add_f32_e64 v47, v47, 1.0                                // 00000000743C: D101002F 0001E52F
	v_add_f32_e64 v48, v48, 1.0                                // 000000007444: D1010030 0001E530
	v_add_f32_e64 v49, v49, 1.0                                // 00000000744C: D1010031 0001E531
	v_rcp_f32_e32 v46, v46                                     // 000000007454: 7E5C452E
	v_rcp_f32_e32 v47, v47                                     // 000000007458: 7E5E452F
	v_rcp_f32_e32 v48, v48                                     // 00000000745C: 7E604530
	v_rcp_f32_e32 v49, v49                                     // 000000007460: 7E624531
	v_mul_f32_e32 v140, v140, v46                              // 000000007464: 0B185D8C
	v_mul_f32_e32 v141, v141, v47                              // 000000007468: 0B1A5F8D
	v_mul_f32_e32 v142, v142, v48                              // 00000000746C: 0B1C618E
	v_mul_f32_e32 v143, v143, v49                              // 000000007470: 0B1E638F
	v_mul_f32_e32 v140, v140, v76                              // 000000007474: 0B18998C
	v_mul_f32_e32 v141, v141, v77                              // 000000007478: 0B1A9B8D
	v_mul_f32_e32 v142, v142, v78                              // 00000000747C: 0B1C9D8E
	v_mul_f32_e32 v143, v143, v79                              // 000000007480: 0B1E9F8F
	s_waitcnt vmcnt(12)                                        // 000000007484: BF8C0F7C
	buffer_load_dwordx4 a[32:35], v36, s[12:15], 0 offen       // 000000007488: E05C1000 80832024
	v_mul_f32_e32 v46, v144, v144                              // 000000007490: 0A5D2190
	v_mul_f32_e32 v47, v145, v145                              // 000000007494: 0A5F2391
	v_mul_f32_e32 v48, v146, v146                              // 000000007498: 0A612592
	v_mul_f32_e32 v49, v147, v147                              // 00000000749C: 0A632793
	v_fma_f32 v46, v46, s77, v1                                // 0000000074A0: D1CB002E 04049B2E
	v_fma_f32 v47, v47, s77, v1                                // 0000000074A8: D1CB002F 04049B2F
	v_fma_f32 v48, v48, s77, v1                                // 0000000074B0: D1CB0030 04049B30
	v_fma_f32 v49, v49, s77, v1                                // 0000000074B8: D1CB0031 04049B31
	v_mul_f32_e32 v46, v46, v144                               // 0000000074C0: 0A5D212E
	v_mul_f32_e32 v47, v47, v145                               // 0000000074C4: 0A5F232F
	v_mul_f32_e32 v48, v48, v146                               // 0000000074C8: 0A612530
	v_mul_f32_e32 v49, v49, v147                               // 0000000074CC: 0A632731
	v_mul_f32_e64 v46, v46, s6                                 // 0000000074D0: D105002E 00000D2E
	v_mul_f32_e64 v47, v47, s6                                 // 0000000074D8: D105002F 00000D2F
	v_mul_f32_e64 v48, v48, s6                                 // 0000000074E0: D1050030 00000D30
	v_mul_f32_e64 v49, v49, s6                                 // 0000000074E8: D1050031 00000D31
	v_exp_f32_e32 v46, v46                                     // 0000000074F0: 7E5C412E
	v_exp_f32_e32 v47, v47                                     // 0000000074F4: 7E5E412F
	v_exp_f32_e32 v48, v48                                     // 0000000074F8: 7E604130
	v_exp_f32_e32 v49, v49                                     // 0000000074FC: 7E624131
	buffer_load_dwordx4 a[36:39], v37, s[12:15], 0 offen       // 000000007500: E05C1000 80832425
	v_add_f32_e64 v46, v46, 1.0                                // 000000007508: D101002E 0001E52E
	v_add_f32_e64 v47, v47, 1.0                                // 000000007510: D101002F 0001E52F
	v_add_f32_e64 v48, v48, 1.0                                // 000000007518: D1010030 0001E530
	v_add_f32_e64 v49, v49, 1.0                                // 000000007520: D1010031 0001E531
	v_rcp_f32_e32 v46, v46                                     // 000000007528: 7E5C452E
	v_rcp_f32_e32 v47, v47                                     // 00000000752C: 7E5E452F
	v_rcp_f32_e32 v48, v48                                     // 000000007530: 7E604530
	v_rcp_f32_e32 v49, v49                                     // 000000007534: 7E624531
	v_mul_f32_e32 v144, v144, v46                              // 000000007538: 0B205D90
	v_mul_f32_e32 v145, v145, v47                              // 00000000753C: 0B225F91
	v_mul_f32_e32 v146, v146, v48                              // 000000007540: 0B246192
	v_mul_f32_e32 v147, v147, v49                              // 000000007544: 0B266393
	v_mul_f32_e32 v144, v144, v80                              // 000000007548: 0B20A190
	v_mul_f32_e32 v145, v145, v81                              // 00000000754C: 0B22A391
	v_mul_f32_e32 v146, v146, v82                              // 000000007550: 0B24A592
	v_mul_f32_e32 v147, v147, v83                              // 000000007554: 0B26A793
	buffer_load_dwordx4 a[40:43], v38, s[12:15], 0 offen       // 000000007558: E05C1000 80832826
	v_mul_f32_e32 v46, v148, v148                              // 000000007560: 0A5D2994
	v_mul_f32_e32 v47, v149, v149                              // 000000007564: 0A5F2B95
	v_mul_f32_e32 v48, v150, v150                              // 000000007568: 0A612D96
	v_mul_f32_e32 v49, v151, v151                              // 00000000756C: 0A632F97
	v_fma_f32 v46, v46, s77, v1                                // 000000007570: D1CB002E 04049B2E
	v_fma_f32 v47, v47, s77, v1                                // 000000007578: D1CB002F 04049B2F
	v_fma_f32 v48, v48, s77, v1                                // 000000007580: D1CB0030 04049B30
	v_fma_f32 v49, v49, s77, v1                                // 000000007588: D1CB0031 04049B31
	v_mul_f32_e32 v46, v46, v148                               // 000000007590: 0A5D292E
	v_mul_f32_e32 v47, v47, v149                               // 000000007594: 0A5F2B2F
	v_mul_f32_e32 v48, v48, v150                               // 000000007598: 0A612D30
	v_mul_f32_e32 v49, v49, v151                               // 00000000759C: 0A632F31
	v_mul_f32_e64 v46, v46, s6                                 // 0000000075A0: D105002E 00000D2E
	v_mul_f32_e64 v47, v47, s6                                 // 0000000075A8: D105002F 00000D2F
	v_mul_f32_e64 v48, v48, s6                                 // 0000000075B0: D1050030 00000D30
	v_mul_f32_e64 v49, v49, s6                                 // 0000000075B8: D1050031 00000D31
	v_exp_f32_e32 v46, v46                                     // 0000000075C0: 7E5C412E
	v_exp_f32_e32 v47, v47                                     // 0000000075C4: 7E5E412F
	v_exp_f32_e32 v48, v48                                     // 0000000075C8: 7E604130
	v_exp_f32_e32 v49, v49                                     // 0000000075CC: 7E624131
	buffer_load_dwordx4 a[44:47], v39, s[12:15], 0 offen       // 0000000075D0: E05C1000 80832C27
	s_add_u32 s12, s78, s12                                    // 0000000075D8: 800C0C4E
	s_addc_u32 s13, 0, s13                                     // 0000000075DC: 820D0D80
	v_add_f32_e64 v46, v46, 1.0                                // 0000000075E0: D101002E 0001E52E
	v_add_f32_e64 v47, v47, 1.0                                // 0000000075E8: D101002F 0001E52F
	v_add_f32_e64 v48, v48, 1.0                                // 0000000075F0: D1010030 0001E530
	v_add_f32_e64 v49, v49, 1.0                                // 0000000075F8: D1010031 0001E531
	v_rcp_f32_e32 v46, v46                                     // 000000007600: 7E5C452E
	v_rcp_f32_e32 v47, v47                                     // 000000007604: 7E5E452F
	v_rcp_f32_e32 v48, v48                                     // 000000007608: 7E604530
	v_rcp_f32_e32 v49, v49                                     // 00000000760C: 7E624531
	v_mul_f32_e32 v148, v148, v46                              // 000000007610: 0B285D94
	v_mul_f32_e32 v149, v149, v47                              // 000000007614: 0B2A5F95
	v_mul_f32_e32 v150, v150, v48                              // 000000007618: 0B2C6196
	v_mul_f32_e32 v151, v151, v49                              // 00000000761C: 0B2E6397
	v_mul_f32_e32 v148, v148, v84                              // 000000007620: 0B28A994
	v_mul_f32_e32 v149, v149, v85                              // 000000007624: 0B2AAB95
	v_mul_f32_e32 v150, v150, v86                              // 000000007628: 0B2CAD96
	v_mul_f32_e32 v151, v151, v87                              // 00000000762C: 0B2EAF97
	s_waitcnt vmcnt(12)                                        // 000000007630: BF8C0F7C
	buffer_load_dwordx4 a[48:51], v36, s[12:15], 0 offen       // 000000007634: E05C1000 80833024
	v_mul_f32_e32 v46, v152, v152                              // 00000000763C: 0A5D3198
	v_mul_f32_e32 v47, v153, v153                              // 000000007640: 0A5F3399
	v_mul_f32_e32 v48, v154, v154                              // 000000007644: 0A61359A
	v_mul_f32_e32 v49, v155, v155                              // 000000007648: 0A63379B
	v_fma_f32 v46, v46, s77, v1                                // 00000000764C: D1CB002E 04049B2E
	v_fma_f32 v47, v47, s77, v1                                // 000000007654: D1CB002F 04049B2F
	v_fma_f32 v48, v48, s77, v1                                // 00000000765C: D1CB0030 04049B30
	v_fma_f32 v49, v49, s77, v1                                // 000000007664: D1CB0031 04049B31
	v_mul_f32_e32 v46, v46, v152                               // 00000000766C: 0A5D312E
	v_mul_f32_e32 v47, v47, v153                               // 000000007670: 0A5F332F
	v_mul_f32_e32 v48, v48, v154                               // 000000007674: 0A613530
	v_mul_f32_e32 v49, v49, v155                               // 000000007678: 0A633731
	v_mul_f32_e64 v46, v46, s6                                 // 00000000767C: D105002E 00000D2E
	v_mul_f32_e64 v47, v47, s6                                 // 000000007684: D105002F 00000D2F
	v_mul_f32_e64 v48, v48, s6                                 // 00000000768C: D1050030 00000D30
	v_mul_f32_e64 v49, v49, s6                                 // 000000007694: D1050031 00000D31
	v_exp_f32_e32 v46, v46                                     // 00000000769C: 7E5C412E
	v_exp_f32_e32 v47, v47                                     // 0000000076A0: 7E5E412F
	v_exp_f32_e32 v48, v48                                     // 0000000076A4: 7E604130
	v_exp_f32_e32 v49, v49                                     // 0000000076A8: 7E624131
	buffer_load_dwordx4 a[52:55], v37, s[12:15], 0 offen       // 0000000076AC: E05C1000 80833425
	v_add_f32_e64 v46, v46, 1.0                                // 0000000076B4: D101002E 0001E52E
	v_add_f32_e64 v47, v47, 1.0                                // 0000000076BC: D101002F 0001E52F
	v_add_f32_e64 v48, v48, 1.0                                // 0000000076C4: D1010030 0001E530
	v_add_f32_e64 v49, v49, 1.0                                // 0000000076CC: D1010031 0001E531
	v_rcp_f32_e32 v46, v46                                     // 0000000076D4: 7E5C452E
	v_rcp_f32_e32 v47, v47                                     // 0000000076D8: 7E5E452F
	v_rcp_f32_e32 v48, v48                                     // 0000000076DC: 7E604530
	v_rcp_f32_e32 v49, v49                                     // 0000000076E0: 7E624531
	v_mul_f32_e32 v152, v152, v46                              // 0000000076E4: 0B305D98
	v_mul_f32_e32 v153, v153, v47                              // 0000000076E8: 0B325F99
	v_mul_f32_e32 v154, v154, v48                              // 0000000076EC: 0B34619A
	v_mul_f32_e32 v155, v155, v49                              // 0000000076F0: 0B36639B
	v_mul_f32_e32 v152, v152, v88                              // 0000000076F4: 0B30B198
	v_mul_f32_e32 v153, v153, v89                              // 0000000076F8: 0B32B399
	v_mul_f32_e32 v154, v154, v90                              // 0000000076FC: 0B34B59A
	v_mul_f32_e32 v155, v155, v91                              // 000000007700: 0B36B79B
	buffer_load_dwordx4 a[56:59], v38, s[12:15], 0 offen       // 000000007704: E05C1000 80833826
	v_mul_f32_e32 v46, v156, v156                              // 00000000770C: 0A5D399C
	v_mul_f32_e32 v47, v157, v157                              // 000000007710: 0A5F3B9D
	v_mul_f32_e32 v48, v158, v158                              // 000000007714: 0A613D9E
	v_mul_f32_e32 v49, v159, v159                              // 000000007718: 0A633F9F
	v_fma_f32 v46, v46, s77, v1                                // 00000000771C: D1CB002E 04049B2E
	v_fma_f32 v47, v47, s77, v1                                // 000000007724: D1CB002F 04049B2F
	v_fma_f32 v48, v48, s77, v1                                // 00000000772C: D1CB0030 04049B30
	v_fma_f32 v49, v49, s77, v1                                // 000000007734: D1CB0031 04049B31
	v_mul_f32_e32 v46, v46, v156                               // 00000000773C: 0A5D392E
	v_mul_f32_e32 v47, v47, v157                               // 000000007740: 0A5F3B2F
	v_mul_f32_e32 v48, v48, v158                               // 000000007744: 0A613D30
	v_mul_f32_e32 v49, v49, v159                               // 000000007748: 0A633F31
	v_mul_f32_e64 v46, v46, s6                                 // 00000000774C: D105002E 00000D2E
	v_mul_f32_e64 v47, v47, s6                                 // 000000007754: D105002F 00000D2F
	v_mul_f32_e64 v48, v48, s6                                 // 00000000775C: D1050030 00000D30
	v_mul_f32_e64 v49, v49, s6                                 // 000000007764: D1050031 00000D31
	v_exp_f32_e32 v46, v46                                     // 00000000776C: 7E5C412E
	v_exp_f32_e32 v47, v47                                     // 000000007770: 7E5E412F
	v_exp_f32_e32 v48, v48                                     // 000000007774: 7E604130
	v_exp_f32_e32 v49, v49                                     // 000000007778: 7E624131
	buffer_load_dwordx4 a[60:63], v39, s[12:15], 0 offen       // 00000000777C: E05C1000 80833C27
	v_add_f32_e64 v46, v46, 1.0                                // 000000007784: D101002E 0001E52E
	v_add_f32_e64 v47, v47, 1.0                                // 00000000778C: D101002F 0001E52F
	v_add_f32_e64 v48, v48, 1.0                                // 000000007794: D1010030 0001E530
	v_add_f32_e64 v49, v49, 1.0                                // 00000000779C: D1010031 0001E531
	v_rcp_f32_e32 v46, v46                                     // 0000000077A4: 7E5C452E
	v_rcp_f32_e32 v47, v47                                     // 0000000077A8: 7E5E452F
	v_rcp_f32_e32 v48, v48                                     // 0000000077AC: 7E604530
	v_rcp_f32_e32 v49, v49                                     // 0000000077B0: 7E624531
	v_mul_f32_e32 v156, v156, v46                              // 0000000077B4: 0B385D9C
	v_mul_f32_e32 v157, v157, v47                              // 0000000077B8: 0B3A5F9D
	v_mul_f32_e32 v158, v158, v48                              // 0000000077BC: 0B3C619E
	v_mul_f32_e32 v159, v159, v49                              // 0000000077C0: 0B3E639F
	v_mul_f32_e32 v156, v156, v92                              // 0000000077C4: 0B38B99C
	v_mul_f32_e32 v157, v157, v93                              // 0000000077C8: 0B3ABB9D
	v_mul_f32_e32 v158, v158, v94                              // 0000000077CC: 0B3CBD9E
	v_mul_f32_e32 v159, v159, v95                              // 0000000077D0: 0B3EBF9F
	v_lshlrev_b32_e32 v46, 2, v0                               // 0000000077D4: 245C0082
	s_mul_i32 s60, s82, s71                                    // 0000000077D8: 923C4752
	v_add_u32_e64 v80, v46, s60                                // 0000000077DC: D1340050 0000792E
	v_mov_b32_e32 v81, 0                                       // 0000000077E4: 7EA20280
	s_mul_i32 s60, s83, s71                                    // 0000000077E8: 923C4753
	v_add_u32_e64 v82, v46, s60                                // 0000000077EC: D1340052 0000792E
	v_mov_b32_e32 v83, 0                                       // 0000000077F4: 7EA60280
	s_mul_i32 s60, s84, s71                                    // 0000000077F8: 923C4754
	v_add_u32_e64 v84, v46, s60                                // 0000000077FC: D1340054 0000792E
	v_mov_b32_e32 v85, 0                                       // 000000007804: 7EAA0280
	s_mul_i32 s60, s85, s71                                    // 000000007808: 923C4755
	v_add_u32_e64 v86, v46, s60                                // 00000000780C: D1340056 0000792E
	v_mov_b32_e32 v87, 0                                       // 000000007814: 7EAE0280
	s_mul_i32 s60, s86, s71                                    // 000000007818: 923C4756
	v_add_u32_e64 v88, v46, s60                                // 00000000781C: D1340058 0000792E
	v_mov_b32_e32 v89, 0                                       // 000000007824: 7EB20280
	s_mul_i32 s60, s87, s71                                    // 000000007828: 923C4757
	v_add_u32_e64 v90, v46, s60                                // 00000000782C: D134005A 0000792E
	v_mov_b32_e32 v91, 0                                       // 000000007834: 7EB60280
	s_mul_i32 s60, s88, s71                                    // 000000007838: 923C4758
	v_add_u32_e64 v92, v46, s60                                // 00000000783C: D134005C 0000792E
	v_mov_b32_e32 v93, 0                                       // 000000007844: 7EBA0280
	s_mul_i32 s60, s89, s71                                    // 000000007848: 923C4759
	v_add_u32_e64 v94, v46, s60                                // 00000000784C: D134005E 0000792E
	v_mov_b32_e32 v95, 0                                       // 000000007854: 7EBE0280
	buffer_load_dword v11, v5, s[16:19], 0 offen               // 000000007858: E0501000 80040B05
	v_mov_b32_e32 v20, 0x358637bd                              // 000000007860: 7E2802FF 358637BD
	v_mov_b32_e32 v21, 0x358637bd                              // 000000007868: 7E2A02FF 358637BD
	v_max3_f32 v20, |v128|, |v129|, v20                        // 000000007870: D1D30314 04530380
	v_max3_f32 v20, |v130|, |v131|, v20                        // 000000007878: D1D30314 04530782
	v_max3_f32 v21, |v132|, |v133|, v21                        // 000000007880: D1D30315 04570B84
	v_max3_f32 v21, |v134|, |v135|, v21                        // 000000007888: D1D30315 04570F86
	v_max3_f32 v20, |v136|, |v137|, v20                        // 000000007890: D1D30314 04531388
	v_max3_f32 v20, |v138|, |v139|, v20                        // 000000007898: D1D30314 0453178A
	v_max3_f32 v21, |v140|, |v141|, v21                        // 0000000078A0: D1D30315 04571B8C
	v_max3_f32 v21, |v142|, |v143|, v21                        // 0000000078A8: D1D30315 04571F8E
	v_max3_f32 v20, |v144|, |v145|, v20                        // 0000000078B0: D1D30314 04532390
	v_max3_f32 v20, |v146|, |v147|, v20                        // 0000000078B8: D1D30314 04532792
	v_max3_f32 v21, |v148|, |v149|, v21                        // 0000000078C0: D1D30315 04572B94
	v_max3_f32 v21, |v150|, |v151|, v21                        // 0000000078C8: D1D30315 04572F96
	v_max3_f32 v20, |v152|, |v153|, v20                        // 0000000078D0: D1D30314 04533398
	v_max3_f32 v20, |v154|, |v155|, v20                        // 0000000078D8: D1D30314 0453379A
	v_max3_f32 v21, |v156|, |v157|, v21                        // 0000000078E0: D1D30315 04573B9C
	v_max3_f32 v21, |v158|, |v159|, v21                        // 0000000078E8: D1D30315 04573F9E
	v_lshlrev_b32_e32 v46, 3, v0                               // 0000000078F0: 245C0083
	s_mul_i32 s60, 0x200, s7                                   // 0000000078F4: 923C07FF 00000200
	v_add_u32_e32 v46, s60, v46                                // 0000000078FC: 685C5C3C
	ds_write_b64 v46, v[20:21] offset:16640                    // 000000007900: D89A4100 0000142E
	s_waitcnt lgkmcnt(0)                                       // 000000007908: BF8CC07F
	s_barrier                                                  // 00000000790C: BF8A0000
	v_and_b32_e32 v46, 15, v0                                  // 000000007910: 265C008F
	v_lshlrev_b32_e32 v46, 3, v46                              // 000000007914: 245C5C83
	ds_read_b64 v[96:97], v46 offset:16640                     // 000000007918: D8EC4100 6000002E
	ds_read_b64 v[98:99], v46 offset:16768                     // 000000007920: D8EC4180 6200002E
	ds_read_b64 v[100:101], v46 offset:16896                   // 000000007928: D8EC4200 6400002E
	ds_read_b64 v[102:103], v46 offset:17024                   // 000000007930: D8EC4280 6600002E
	ds_read_b64 v[104:105], v46 offset:17152                   // 000000007938: D8EC4300 6800002E
	ds_read_b64 v[106:107], v46 offset:17280                   // 000000007940: D8EC4380 6A00002E
	ds_read_b64 v[108:109], v46 offset:17408                   // 000000007948: D8EC4400 6C00002E
	ds_read_b64 v[110:111], v46 offset:17536                   // 000000007950: D8EC4480 6E00002E
	ds_read_b64 v[112:113], v46 offset:17664                   // 000000007958: D8EC4500 7000002E
	ds_read_b64 v[114:115], v46 offset:17792                   // 000000007960: D8EC4580 7200002E
	ds_read_b64 v[116:117], v46 offset:17920                   // 000000007968: D8EC4600 7400002E
	ds_read_b64 v[118:119], v46 offset:18048                   // 000000007970: D8EC4680 7600002E
	ds_read_b64 v[120:121], v46 offset:18176                   // 000000007978: D8EC4700 7800002E
	ds_read_b64 v[122:123], v46 offset:18304                   // 000000007980: D8EC4780 7A00002E
	ds_read_b64 v[124:125], v46 offset:18432                   // 000000007988: D8EC4800 7C00002E
	ds_read_b64 v[126:127], v46 offset:18560                   // 000000007990: D8EC4880 7E00002E
	s_waitcnt lgkmcnt(0)                                       // 000000007998: BF8CC07F
	v_max3_f32 v20, |v96|, |v98|, v20                          // 00000000799C: D1D30314 0452C560
	v_max3_f32 v21, |v97|, |v99|, v21                          // 0000000079A4: D1D30315 0456C761
	v_max3_f32 v20, |v100|, |v102|, v20                        // 0000000079AC: D1D30314 0452CD64
	v_max3_f32 v21, |v101|, |v103|, v21                        // 0000000079B4: D1D30315 0456CF65
	v_max3_f32 v20, |v104|, |v106|, v20                        // 0000000079BC: D1D30314 0452D568
	v_max3_f32 v21, |v105|, |v107|, v21                        // 0000000079C4: D1D30315 0456D769
	v_max3_f32 v20, |v108|, |v110|, v20                        // 0000000079CC: D1D30314 0452DD6C
	v_max3_f32 v21, |v109|, |v111|, v21                        // 0000000079D4: D1D30315 0456DF6D
	v_max3_f32 v20, |v112|, |v114|, v20                        // 0000000079DC: D1D30314 0452E570
	v_max3_f32 v21, |v113|, |v115|, v21                        // 0000000079E4: D1D30315 0456E771
	v_max3_f32 v20, |v116|, |v118|, v20                        // 0000000079EC: D1D30314 0452ED74
	v_max3_f32 v21, |v117|, |v119|, v21                        // 0000000079F4: D1D30315 0456EF75
	v_max3_f32 v20, |v120|, |v122|, v20                        // 0000000079FC: D1D30314 0452F578
	v_max3_f32 v21, |v121|, |v123|, v21                        // 000000007A04: D1D30315 0456F779
	v_max3_f32 v20, |v124|, |v126|, v20                        // 000000007A0C: D1D30314 0452FD7C
	v_max3_f32 v21, |v125|, |v127|, v21                        // 000000007A14: D1D30315 0456FF7D
	v_rcp_f32_e32 v20, v20                                     // 000000007A1C: 7E284514
	v_rcp_f32_e32 v21, v21                                     // 000000007A20: 7E2A4515
	v_mov_b32_e32 v46, 0x43700000                              // 000000007A24: 7E5C02FF 43700000
	v_mul_f32_e32 v20, v46, v20                                // 000000007A2C: 0A28292E
	v_mul_f32_e32 v21, v46, v21                                // 000000007A30: 0A2A2B2E
	v_mul_f32_e32 v128, v20, v128                              // 000000007A34: 0B010114
	v_mul_f32_e32 v129, v20, v129                              // 000000007A38: 0B030314
	v_mul_f32_e32 v130, v20, v130                              // 000000007A3C: 0B050514
	v_mul_f32_e32 v131, v20, v131                              // 000000007A40: 0B070714
	v_cvt_pk_fp8_f32 v128, v128, v129                          // 000000007A44: D2A20080 00030380
	v_cvt_pk_fp8_f32 v128, v130, v131 op_sel:[0,0,1]           // 000000007A4C: D2A24080 00030782
	v_mul_f32_e32 v132, v21, v132                              // 000000007A54: 0B090915
	v_mul_f32_e32 v133, v21, v133                              // 000000007A58: 0B0B0B15
	v_mul_f32_e32 v134, v21, v134                              // 000000007A5C: 0B0D0D15
	v_mul_f32_e32 v135, v21, v135                              // 000000007A60: 0B0F0F15
	v_cvt_pk_fp8_f32 v129, v132, v133                          // 000000007A64: D2A20081 00030B84
	v_cvt_pk_fp8_f32 v129, v134, v135 op_sel:[0,0,1]           // 000000007A6C: D2A24081 00030F86
	v_mul_f32_e32 v136, v20, v136                              // 000000007A74: 0B111114
	v_mul_f32_e32 v137, v20, v137                              // 000000007A78: 0B131314
	v_mul_f32_e32 v138, v20, v138                              // 000000007A7C: 0B151514
	v_mul_f32_e32 v139, v20, v139                              // 000000007A80: 0B171714
	v_cvt_pk_fp8_f32 v130, v136, v137                          // 000000007A84: D2A20082 00031388
	v_cvt_pk_fp8_f32 v130, v138, v139 op_sel:[0,0,1]           // 000000007A8C: D2A24082 0003178A
	v_mul_f32_e32 v140, v21, v140                              // 000000007A94: 0B191915
	v_mul_f32_e32 v141, v21, v141                              // 000000007A98: 0B1B1B15
	v_mul_f32_e32 v142, v21, v142                              // 000000007A9C: 0B1D1D15
	v_mul_f32_e32 v143, v21, v143                              // 000000007AA0: 0B1F1F15
	v_cvt_pk_fp8_f32 v131, v140, v141                          // 000000007AA4: D2A20083 00031B8C
	v_cvt_pk_fp8_f32 v131, v142, v143 op_sel:[0,0,1]           // 000000007AAC: D2A24083 00031F8E
	v_mul_f32_e32 v144, v20, v144                              // 000000007AB4: 0B212114
	v_mul_f32_e32 v145, v20, v145                              // 000000007AB8: 0B232314
	v_mul_f32_e32 v146, v20, v146                              // 000000007ABC: 0B252514
	v_mul_f32_e32 v147, v20, v147                              // 000000007AC0: 0B272714
	v_cvt_pk_fp8_f32 v132, v144, v145                          // 000000007AC4: D2A20084 00032390
	v_cvt_pk_fp8_f32 v132, v146, v147 op_sel:[0,0,1]           // 000000007ACC: D2A24084 00032792
	v_mul_f32_e32 v148, v21, v148                              // 000000007AD4: 0B292915
	v_mul_f32_e32 v149, v21, v149                              // 000000007AD8: 0B2B2B15
	v_mul_f32_e32 v150, v21, v150                              // 000000007ADC: 0B2D2D15
	v_mul_f32_e32 v151, v21, v151                              // 000000007AE0: 0B2F2F15
	v_cvt_pk_fp8_f32 v133, v148, v149                          // 000000007AE4: D2A20085 00032B94
	v_cvt_pk_fp8_f32 v133, v150, v151 op_sel:[0,0,1]           // 000000007AEC: D2A24085 00032F96
	v_mul_f32_e32 v152, v20, v152                              // 000000007AF4: 0B313114
	v_mul_f32_e32 v153, v20, v153                              // 000000007AF8: 0B333314
	v_mul_f32_e32 v154, v20, v154                              // 000000007AFC: 0B353514
	v_mul_f32_e32 v155, v20, v155                              // 000000007B00: 0B373714
	v_cvt_pk_fp8_f32 v134, v152, v153                          // 000000007B04: D2A20086 00033398
	v_cvt_pk_fp8_f32 v134, v154, v155 op_sel:[0,0,1]           // 000000007B0C: D2A24086 0003379A
	v_mul_f32_e32 v156, v21, v156                              // 000000007B14: 0B393915
	v_mul_f32_e32 v157, v21, v157                              // 000000007B18: 0B3B3B15
	v_mul_f32_e32 v158, v21, v158                              // 000000007B1C: 0B3D3D15
	v_mul_f32_e32 v159, v21, v159                              // 000000007B20: 0B3F3F15
	v_cvt_pk_fp8_f32 v135, v156, v157                          // 000000007B24: D2A20087 00033B9C
	v_cvt_pk_fp8_f32 v135, v158, v159 op_sel:[0,0,1]           // 000000007B2C: D2A24087 00033F9E
	v_rcp_f32_e32 v22, v20                                     // 000000007B34: 7E2C4514
	v_rcp_f32_e32 v23, v21                                     // 000000007B38: 7E2E4515
	v_lshrrev_b32_e32 v46, 5, v0                               // 000000007B3C: 205C0085
	v_lshlrev_b32_e32 v47, 5, v46                              // 000000007B40: 245E5C85
	v_and_b32_e32 v46, 31, v0                                  // 000000007B44: 265C009F
	v_lshrrev_b32_e32 v48, 4, v46                              // 000000007B48: 20605C84
	v_add_u32_e32 v47, v48, v47                                // 000000007B4C: 685E5F30
	v_and_b32_e32 v46, 15, v0                                  // 000000007B50: 265C008F
	v_lshlrev_b32_e32 v46, 1, v46                              // 000000007B54: 245C5C81
	v_add_u32_e32 v47, v46, v47                                // 000000007B58: 685E5F2E
	v_lshlrev_b32_e32 v46, 2, v47                              // 000000007B5C: 245C5E82
	s_mul_i32 s60, 0x100, s7                                   // 000000007B60: 923C07FF 00000100
	v_add_u32_e64 v46, v46, s60                                // 000000007B68: D134002E 0000792E
	ds_write_b32 v46, v128 offset:18688                        // 000000007B70: D81A4900 0000802E
	ds_write_b32 v46, v129 offset:22784                        // 000000007B78: D81A5900 0000812E
	ds_write_b32 v46, v130 offset:19712                        // 000000007B80: D81A4D00 0000822E
	ds_write_b32 v46, v131 offset:23808                        // 000000007B88: D81A5D00 0000832E
	ds_write_b32 v46, v132 offset:20736                        // 000000007B90: D81A5100 0000842E
	ds_write_b32 v46, v133 offset:24832                        // 000000007B98: D81A6100 0000852E
	ds_write_b32 v46, v134 offset:21760                        // 000000007BA0: D81A5500 0000862E
	ds_write_b32 v46, v135 offset:25856                        // 000000007BA8: D81A6500 0000872E
	s_waitcnt lgkmcnt(0)                                       // 000000007BB0: BF8CC07F
	s_barrier                                                  // 000000007BB4: BF8A0000
	v_lshrrev_b32_e32 v46, 4, v0                               // 000000007BB8: 205C0084
	v_lshlrev_b32_e32 v47, 6, v46                              // 000000007BBC: 245E5C86
	v_and_b32_e32 v46, 15, v0                                  // 000000007BC0: 265C008F
	v_lshlrev_b32_e32 v46, 1, v46                              // 000000007BC4: 245C5C81
	v_add_u32_e32 v47, v46, v47                                // 000000007BC8: 685E5F2E
	v_lshlrev_b32_e32 v46, 2, v47                              // 000000007BCC: 245C5E82
	ds_read_b64 v[128:129], v46 offset:18688                   // 000000007BD0: D8EC4900 8000002E
	ds_read_b64 v[130:131], v46 offset:18816                   // 000000007BD8: D8EC4980 8200002E
	ds_read_b64 v[132:133], v46 offset:19712                   // 000000007BE0: D8EC4D00 8400002E
	ds_read_b64 v[134:135], v46 offset:19840                   // 000000007BE8: D8EC4D80 8600002E
	ds_read_b64 v[136:137], v46 offset:20736                   // 000000007BF0: D8EC5100 8800002E
	ds_read_b64 v[138:139], v46 offset:20864                   // 000000007BF8: D8EC5180 8A00002E
	ds_read_b64 v[140:141], v46 offset:21760                   // 000000007C00: D8EC5500 8C00002E
	ds_read_b64 v[142:143], v46 offset:21888                   // 000000007C08: D8EC5580 8E00002E
	ds_read_b64 v[144:145], v46 offset:22784                   // 000000007C10: D8EC5900 9000002E
	ds_read_b64 v[146:147], v46 offset:22912                   // 000000007C18: D8EC5980 9200002E
	ds_read_b64 v[148:149], v46 offset:23808                   // 000000007C20: D8EC5D00 9400002E
	ds_read_b64 v[150:151], v46 offset:23936                   // 000000007C28: D8EC5D80 9600002E
	ds_read_b64 v[152:153], v46 offset:24832                   // 000000007C30: D8EC6100 9800002E
	ds_read_b64 v[154:155], v46 offset:24960                   // 000000007C38: D8EC6180 9A00002E
	ds_read_b64 v[156:157], v46 offset:25856                   // 000000007C40: D8EC6500 9C00002E
	ds_read_b64 v[158:159], v46 offset:25984                   // 000000007C48: D8EC6580 9E00002E
	s_add_u32 s12, s56, s12                                    // 000000007C50: 800C0C38
	s_addc_u32 s13, 0, s13                                     // 000000007C54: 820D0D80
	s_add_u32 s16, s79, s16                                    // 000000007C58: 8010104F
	s_addc_u32 s17, 0, s17                                     // 000000007C5C: 82111180
	s_mov_b32 s80, 0                                           // 000000007C60: BED00080
	s_waitcnt vmcnt(0) expcnt(0) lgkmcnt(0)                    // 000000007C64: BF8C0000

0000000000007c68 <label_139A>:
	s_waitcnt vmcnt(29)                                        // 000000007C68: BF8C4F7D
	s_barrier                                                  // 000000007C6C: BF8A0000
	v_mfma_f32_16x16x32_fp8_fp8 v[160:163], a[0:1], v[128:129], 0// 000000007C70: D3F300A0 0A030100
	buffer_load_dwordx4 a[64:67], v36, s[12:15], 0 offen       // 000000007C78: E05C1000 80834024
	v_mfma_f32_16x16x32_fp8_fp8 v[160:163], a[2:3], v[130:131], v[160:163]// 000000007C80: D3F300A0 0E830502
	v_mfma_f32_16x16x32_fp8_fp8 v[164:167], a[0:1], v[144:145], 0// 000000007C88: D3F300A4 0A032100
	v_mfma_f32_16x16x32_fp8_fp8 v[164:167], a[2:3], v[146:147], v[164:167]// 000000007C90: D3F300A4 0E932502
	v_mfma_f32_16x16x32_fp8_fp8 v[168:171], a[4:5], v[128:129], 0// 000000007C98: D3F300A8 0A030104
	buffer_load_dwordx4 a[68:71], v37, s[12:15], 0 offen       // 000000007CA0: E05C1000 80834425
	v_mfma_f32_16x16x32_fp8_fp8 v[168:171], a[6:7], v[130:131], v[168:171]// 000000007CA8: D3F300A8 0EA30506
	v_mfma_f32_16x16x32_fp8_fp8 v[172:175], a[4:5], v[144:145], 0// 000000007CB0: D3F300AC 0A032104
	v_mfma_f32_16x16x32_fp8_fp8 v[172:175], a[6:7], v[146:147], v[172:175]// 000000007CB8: D3F300AC 0EB32506
	v_mfma_f32_16x16x32_fp8_fp8 v[176:179], a[8:9], v[128:129], 0// 000000007CC0: D3F300B0 0A030108
	buffer_load_dwordx4 a[72:75], v38, s[12:15], 0 offen       // 000000007CC8: E05C1000 80834826
	v_mfma_f32_16x16x32_fp8_fp8 v[176:179], a[10:11], v[130:131], v[176:179]// 000000007CD0: D3F300B0 0EC3050A
	v_mfma_f32_16x16x32_fp8_fp8 v[180:183], a[8:9], v[144:145], 0// 000000007CD8: D3F300B4 0A032108
	v_mfma_f32_16x16x32_fp8_fp8 v[180:183], a[10:11], v[146:147], v[180:183]// 000000007CE0: D3F300B4 0ED3250A
	v_mfma_f32_16x16x32_fp8_fp8 v[184:187], a[12:13], v[128:129], 0// 000000007CE8: D3F300B8 0A03010C
	buffer_load_dwordx4 a[76:79], v39, s[12:15], 0 offen       // 000000007CF0: E05C1000 80834C27
	s_add_u32 s12, s78, s12                                    // 000000007CF8: 800C0C4E
	s_addc_u32 s13, 0, s13                                     // 000000007CFC: 820D0D80
	v_mfma_f32_16x16x32_fp8_fp8 v[184:187], a[14:15], v[130:131], v[184:187]// 000000007D00: D3F300B8 0EE3050E
	v_mfma_f32_16x16x32_fp8_fp8 v[188:191], a[12:13], v[144:145], 0// 000000007D08: D3F300BC 0A03210C
	v_mfma_f32_16x16x32_fp8_fp8 v[188:191], a[14:15], v[146:147], v[188:191]// 000000007D10: D3F300BC 0EF3250E
	s_waitcnt vmcnt(29)                                        // 000000007D18: BF8C4F7D
	v_mfma_f32_16x16x32_fp8_fp8 v[160:163], a[16:17], v[132:133], v[160:163]// 000000007D1C: D3F300A0 0E830910
	buffer_load_dwordx4 a[80:83], v36, s[12:15], 0 offen       // 000000007D24: E05C1000 80835024
	v_mfma_f32_16x16x32_fp8_fp8 v[160:163], a[18:19], v[134:135], v[160:163]// 000000007D2C: D3F300A0 0E830D12
	v_mfma_f32_16x16x32_fp8_fp8 v[164:167], a[16:17], v[148:149], v[164:167]// 000000007D34: D3F300A4 0E932910
	v_mfma_f32_16x16x32_fp8_fp8 v[164:167], a[18:19], v[150:151], v[164:167]// 000000007D3C: D3F300A4 0E932D12
	v_mfma_f32_16x16x32_fp8_fp8 v[168:171], a[20:21], v[132:133], v[168:171]// 000000007D44: D3F300A8 0EA30914
	buffer_load_dwordx4 a[84:87], v37, s[12:15], 0 offen       // 000000007D4C: E05C1000 80835425
	v_mfma_f32_16x16x32_fp8_fp8 v[168:171], a[22:23], v[134:135], v[168:171]// 000000007D54: D3F300A8 0EA30D16
	v_mfma_f32_16x16x32_fp8_fp8 v[172:175], a[20:21], v[148:149], v[172:175]// 000000007D5C: D3F300AC 0EB32914
	v_mfma_f32_16x16x32_fp8_fp8 v[172:175], a[22:23], v[150:151], v[172:175]// 000000007D64: D3F300AC 0EB32D16
	v_mfma_f32_16x16x32_fp8_fp8 v[176:179], a[24:25], v[132:133], v[176:179]// 000000007D6C: D3F300B0 0EC30918
	buffer_load_dwordx4 a[88:91], v38, s[12:15], 0 offen       // 000000007D74: E05C1000 80835826
	v_mfma_f32_16x16x32_fp8_fp8 v[176:179], a[26:27], v[134:135], v[176:179]// 000000007D7C: D3F300B0 0EC30D1A
	v_mfma_f32_16x16x32_fp8_fp8 v[180:183], a[24:25], v[148:149], v[180:183]// 000000007D84: D3F300B4 0ED32918
	v_mfma_f32_16x16x32_fp8_fp8 v[180:183], a[26:27], v[150:151], v[180:183]// 000000007D8C: D3F300B4 0ED32D1A
	v_mfma_f32_16x16x32_fp8_fp8 v[184:187], a[28:29], v[132:133], v[184:187]// 000000007D94: D3F300B8 0EE3091C
	buffer_load_dwordx4 a[92:95], v39, s[12:15], 0 offen       // 000000007D9C: E05C1000 80835C27
	s_add_u32 s12, s78, s12                                    // 000000007DA4: 800C0C4E
	s_addc_u32 s13, 0, s13                                     // 000000007DA8: 820D0D80
	v_mfma_f32_16x16x32_fp8_fp8 v[184:187], a[30:31], v[134:135], v[184:187]// 000000007DAC: D3F300B8 0EE30D1E
	v_mfma_f32_16x16x32_fp8_fp8 v[188:191], a[28:29], v[148:149], v[188:191]// 000000007DB4: D3F300BC 0EF3291C
	v_mfma_f32_16x16x32_fp8_fp8 v[188:191], a[30:31], v[150:151], v[188:191]// 000000007DBC: D3F300BC 0EF32D1E
	s_waitcnt vmcnt(29)                                        // 000000007DC4: BF8C4F7D
	v_mfma_f32_16x16x32_fp8_fp8 v[160:163], a[32:33], v[136:137], v[160:163]// 000000007DC8: D3F300A0 0E831120
	buffer_load_dwordx4 a[96:99], v36, s[12:15], 0 offen       // 000000007DD0: E05C1000 80836024
	v_mfma_f32_16x16x32_fp8_fp8 v[160:163], a[34:35], v[138:139], v[160:163]// 000000007DD8: D3F300A0 0E831522
	v_mfma_f32_16x16x32_fp8_fp8 v[164:167], a[32:33], v[152:153], v[164:167]// 000000007DE0: D3F300A4 0E933120
	v_mfma_f32_16x16x32_fp8_fp8 v[164:167], a[34:35], v[154:155], v[164:167]// 000000007DE8: D3F300A4 0E933522
	v_mfma_f32_16x16x32_fp8_fp8 v[168:171], a[36:37], v[136:137], v[168:171]// 000000007DF0: D3F300A8 0EA31124
	buffer_load_dwordx4 a[100:103], v37, s[12:15], 0 offen     // 000000007DF8: E05C1000 80836425
	v_mfma_f32_16x16x32_fp8_fp8 v[168:171], a[38:39], v[138:139], v[168:171]// 000000007E00: D3F300A8 0EA31526
	v_mfma_f32_16x16x32_fp8_fp8 v[172:175], a[36:37], v[152:153], v[172:175]// 000000007E08: D3F300AC 0EB33124
	v_mfma_f32_16x16x32_fp8_fp8 v[172:175], a[38:39], v[154:155], v[172:175]// 000000007E10: D3F300AC 0EB33526
	v_mfma_f32_16x16x32_fp8_fp8 v[176:179], a[40:41], v[136:137], v[176:179]// 000000007E18: D3F300B0 0EC31128
	buffer_load_dwordx4 a[104:107], v38, s[12:15], 0 offen     // 000000007E20: E05C1000 80836826
	v_mfma_f32_16x16x32_fp8_fp8 v[176:179], a[42:43], v[138:139], v[176:179]// 000000007E28: D3F300B0 0EC3152A
	v_mfma_f32_16x16x32_fp8_fp8 v[180:183], a[40:41], v[152:153], v[180:183]// 000000007E30: D3F300B4 0ED33128
	v_mfma_f32_16x16x32_fp8_fp8 v[180:183], a[42:43], v[154:155], v[180:183]// 000000007E38: D3F300B4 0ED3352A
	v_mfma_f32_16x16x32_fp8_fp8 v[184:187], a[44:45], v[136:137], v[184:187]// 000000007E40: D3F300B8 0EE3112C
	buffer_load_dwordx4 a[108:111], v39, s[12:15], 0 offen     // 000000007E48: E05C1000 80836C27
	s_add_u32 s12, s78, s12                                    // 000000007E50: 800C0C4E
	s_addc_u32 s13, 0, s13                                     // 000000007E54: 820D0D80
	v_mfma_f32_16x16x32_fp8_fp8 v[184:187], a[46:47], v[138:139], v[184:187]// 000000007E58: D3F300B8 0EE3152E
	v_mfma_f32_16x16x32_fp8_fp8 v[188:191], a[44:45], v[152:153], v[188:191]// 000000007E60: D3F300BC 0EF3312C
	v_mfma_f32_16x16x32_fp8_fp8 v[188:191], a[46:47], v[154:155], v[188:191]// 000000007E68: D3F300BC 0EF3352E
	s_waitcnt vmcnt(28)                                        // 000000007E70: BF8C4F7C
	v_mfma_f32_16x16x32_fp8_fp8 v[160:163], a[48:49], v[140:141], v[160:163]// 000000007E74: D3F300A0 0E831930
	buffer_load_dwordx4 a[112:115], v36, s[12:15], 0 offen     // 000000007E7C: E05C1000 80837024
	v_mfma_f32_16x16x32_fp8_fp8 v[160:163], a[50:51], v[142:143], v[160:163]// 000000007E84: D3F300A0 0E831D32
	v_mfma_f32_16x16x32_fp8_fp8 v[164:167], a[48:49], v[156:157], v[164:167]// 000000007E8C: D3F300A4 0E933930
	buffer_load_dword v12, v5, s[16:19], 0 offen               // 000000007E94: E0501000 80040C05
	v_mfma_f32_16x16x32_fp8_fp8 v[164:167], a[50:51], v[158:159], v[164:167]// 000000007E9C: D3F300A4 0E933D32
	v_mfma_f32_16x16x32_fp8_fp8 v[168:171], a[52:53], v[140:141], v[168:171]// 000000007EA4: D3F300A8 0EA31934
	buffer_load_dwordx4 a[116:119], v37, s[12:15], 0 offen     // 000000007EAC: E05C1000 80837425
	v_mfma_f32_16x16x32_fp8_fp8 v[168:171], a[54:55], v[142:143], v[168:171]// 000000007EB4: D3F300A8 0EA31D36
	v_mfma_f32_16x16x32_fp8_fp8 v[172:175], a[52:53], v[156:157], v[172:175]// 000000007EBC: D3F300AC 0EB33934
	v_mfma_f32_16x16x32_fp8_fp8 v[172:175], a[54:55], v[158:159], v[172:175]// 000000007EC4: D3F300AC 0EB33D36
	v_mfma_f32_16x16x32_fp8_fp8 v[176:179], a[56:57], v[140:141], v[176:179]// 000000007ECC: D3F300B0 0EC31938
	buffer_load_dwordx4 a[120:123], v38, s[12:15], 0 offen     // 000000007ED4: E05C1000 80837826
	v_mfma_f32_16x16x32_fp8_fp8 v[176:179], a[58:59], v[142:143], v[176:179]// 000000007EDC: D3F300B0 0EC31D3A
	v_mfma_f32_16x16x32_fp8_fp8 v[180:183], a[56:57], v[156:157], v[180:183]// 000000007EE4: D3F300B4 0ED33938
	v_mfma_f32_16x16x32_fp8_fp8 v[180:183], a[58:59], v[158:159], v[180:183]// 000000007EEC: D3F300B4 0ED33D3A
	v_mfma_f32_16x16x32_fp8_fp8 v[184:187], a[60:61], v[140:141], v[184:187]// 000000007EF4: D3F300B8 0EE3193C
	buffer_load_dwordx4 a[124:127], v39, s[12:15], 0 offen     // 000000007EFC: E05C1000 80837C27
	v_mfma_f32_16x16x32_fp8_fp8 v[184:187], a[62:63], v[142:143], v[184:187]// 000000007F04: D3F300B8 0EE31D3E
	v_mfma_f32_16x16x32_fp8_fp8 v[188:191], a[60:61], v[156:157], v[188:191]// 000000007F0C: D3F300BC 0EF3393C
	v_mfma_f32_16x16x32_fp8_fp8 v[188:191], a[62:63], v[158:159], v[188:191]// 000000007F14: D3F300BC 0EF33D3E
	s_add_u32 s60, 0x200, s80                                  // 000000007F1C: 803C50FF 00000200
	s_cmp_lt_u32 s60, s81                                      // 000000007F24: BF0A513C
	s_cselect_b32 s56, s56, 0                                  // 000000007F28: 85388038
	s_cselect_b32 s78, s78, 0                                  // 000000007F2C: 854E804E
	s_cselect_b32 s79, s79, 0                                  // 000000007F30: 854F804F
	s_add_u32 s12, s56, s12                                    // 000000007F34: 800C0C38
	s_addc_u32 s13, 0, s13                                     // 000000007F38: 820D0D80
	s_add_u32 s16, s79, s16                                    // 000000007F3C: 8010104F
	s_addc_u32 s17, 0, s17                                     // 000000007F40: 82111180
	v_mul_f32_e32 v160, v22, v160                              // 000000007F44: 0B414116
	v_mul_f32_e32 v161, v22, v161                              // 000000007F48: 0B434316
	v_mul_f32_e32 v162, v22, v162                              // 000000007F4C: 0B454516
	v_mul_f32_e32 v163, v22, v163                              // 000000007F50: 0B474716
	v_mul_f32_dpp v160, v11, v160 row_newbcast:0 row_mask:0xf bank_mask:0xf// 000000007F54: 0B4140FA FF01500B
	v_mul_f32_dpp v161, v11, v161 row_newbcast:1 row_mask:0xf bank_mask:0xf// 000000007F5C: 0B4342FA FF01510B
	v_mul_f32_dpp v162, v11, v162 row_newbcast:2 row_mask:0xf bank_mask:0xf// 000000007F64: 0B4544FA FF01520B
	v_mul_f32_dpp v163, v11, v163 row_newbcast:3 row_mask:0xf bank_mask:0xf// 000000007F6C: 0B4746FA FF01530B
	v_mul_f32_e32 v160, v17, v160                              // 000000007F74: 0B414111
	v_mul_f32_e32 v161, v17, v161                              // 000000007F78: 0B434311
	v_mul_f32_e32 v162, v17, v162                              // 000000007F7C: 0B454511
	v_mul_f32_e32 v163, v17, v163                              // 000000007F80: 0B474711
	v_mul_f32_e32 v164, v23, v164                              // 000000007F84: 0B494917
	v_mul_f32_e32 v165, v23, v165                              // 000000007F88: 0B4B4B17
	v_mul_f32_e32 v166, v23, v166                              // 000000007F8C: 0B4D4D17
	v_mul_f32_e32 v167, v23, v167                              // 000000007F90: 0B4F4F17
	v_mul_f32_dpp v164, v11, v164 row_newbcast:0 row_mask:0xf bank_mask:0xf// 000000007F94: 0B4948FA FF01500B
	v_mul_f32_dpp v165, v11, v165 row_newbcast:1 row_mask:0xf bank_mask:0xf// 000000007F9C: 0B4B4AFA FF01510B
	v_mul_f32_dpp v166, v11, v166 row_newbcast:2 row_mask:0xf bank_mask:0xf// 000000007FA4: 0B4D4CFA FF01520B
	v_mul_f32_dpp v167, v11, v167 row_newbcast:3 row_mask:0xf bank_mask:0xf// 000000007FAC: 0B4F4EFA FF01530B
	v_mul_f32_e32 v164, v18, v164                              // 000000007FB4: 0B494912
	v_mul_f32_e32 v165, v18, v165                              // 000000007FB8: 0B4B4B12
	v_mul_f32_e32 v166, v18, v166                              // 000000007FBC: 0B4D4D12
	v_mul_f32_e32 v167, v18, v167                              // 000000007FC0: 0B4F4F12
	v_mul_f32_e32 v168, v22, v168                              // 000000007FC4: 0B515116
	v_mul_f32_e32 v169, v22, v169                              // 000000007FC8: 0B535316
	v_mul_f32_e32 v170, v22, v170                              // 000000007FCC: 0B555516
	v_mul_f32_e32 v171, v22, v171                              // 000000007FD0: 0B575716
	v_mul_f32_dpp v168, v11, v168 row_newbcast:4 row_mask:0xf bank_mask:0xf// 000000007FD4: 0B5150FA FF01540B
	v_mul_f32_dpp v169, v11, v169 row_newbcast:5 row_mask:0xf bank_mask:0xf// 000000007FDC: 0B5352FA FF01550B
	v_mul_f32_dpp v170, v11, v170 row_newbcast:6 row_mask:0xf bank_mask:0xf// 000000007FE4: 0B5554FA FF01560B
	v_mul_f32_dpp v171, v11, v171 row_newbcast:7 row_mask:0xf bank_mask:0xf// 000000007FEC: 0B5756FA FF01570B
	v_mul_f32_e32 v168, v17, v168                              // 000000007FF4: 0B515111
	v_mul_f32_e32 v169, v17, v169                              // 000000007FF8: 0B535311
	v_mul_f32_e32 v170, v17, v170                              // 000000007FFC: 0B555511
	v_mul_f32_e32 v171, v17, v171                              // 000000008000: 0B575711
	v_mul_f32_e32 v172, v23, v172                              // 000000008004: 0B595917
	v_mul_f32_e32 v173, v23, v173                              // 000000008008: 0B5B5B17
	v_mul_f32_e32 v174, v23, v174                              // 00000000800C: 0B5D5D17
	v_mul_f32_e32 v175, v23, v175                              // 000000008010: 0B5F5F17
	v_mul_f32_dpp v172, v11, v172 row_newbcast:4 row_mask:0xf bank_mask:0xf// 000000008014: 0B5958FA FF01540B
	v_mul_f32_dpp v173, v11, v173 row_newbcast:5 row_mask:0xf bank_mask:0xf// 00000000801C: 0B5B5AFA FF01550B
	v_mul_f32_dpp v174, v11, v174 row_newbcast:6 row_mask:0xf bank_mask:0xf// 000000008024: 0B5D5CFA FF01560B
	v_mul_f32_dpp v175, v11, v175 row_newbcast:7 row_mask:0xf bank_mask:0xf// 00000000802C: 0B5F5EFA FF01570B
	v_mul_f32_e32 v172, v18, v172                              // 000000008034: 0B595912
	v_mul_f32_e32 v173, v18, v173                              // 000000008038: 0B5B5B12
	v_mul_f32_e32 v174, v18, v174                              // 00000000803C: 0B5D5D12
	v_mul_f32_e32 v175, v18, v175                              // 000000008040: 0B5F5F12
	v_mul_f32_e32 v176, v22, v176                              // 000000008044: 0B616116
	v_mul_f32_e32 v177, v22, v177                              // 000000008048: 0B636316
	v_mul_f32_e32 v178, v22, v178                              // 00000000804C: 0B656516
	v_mul_f32_e32 v179, v22, v179                              // 000000008050: 0B676716
	v_mul_f32_dpp v176, v11, v176 row_newbcast:8 row_mask:0xf bank_mask:0xf// 000000008054: 0B6160FA FF01580B
	v_mul_f32_dpp v177, v11, v177 row_newbcast:9 row_mask:0xf bank_mask:0xf// 00000000805C: 0B6362FA FF01590B
	v_mul_f32_dpp v178, v11, v178 row_newbcast:10 row_mask:0xf bank_mask:0xf// 000000008064: 0B6564FA FF015A0B
	v_mul_f32_dpp v179, v11, v179 row_newbcast:11 row_mask:0xf bank_mask:0xf// 00000000806C: 0B6766FA FF015B0B
	v_mul_f32_e32 v176, v17, v176                              // 000000008074: 0B616111
	v_mul_f32_e32 v177, v17, v177                              // 000000008078: 0B636311
	v_mul_f32_e32 v178, v17, v178                              // 00000000807C: 0B656511
	v_mul_f32_e32 v179, v17, v179                              // 000000008080: 0B676711
	v_mul_f32_e32 v180, v23, v180                              // 000000008084: 0B696917
	v_mul_f32_e32 v181, v23, v181                              // 000000008088: 0B6B6B17
	v_mul_f32_e32 v182, v23, v182                              // 00000000808C: 0B6D6D17
	v_mul_f32_e32 v183, v23, v183                              // 000000008090: 0B6F6F17
	v_mul_f32_dpp v180, v11, v180 row_newbcast:8 row_mask:0xf bank_mask:0xf// 000000008094: 0B6968FA FF01580B
	v_mul_f32_dpp v181, v11, v181 row_newbcast:9 row_mask:0xf bank_mask:0xf// 00000000809C: 0B6B6AFA FF01590B
	v_mul_f32_dpp v182, v11, v182 row_newbcast:10 row_mask:0xf bank_mask:0xf// 0000000080A4: 0B6D6CFA FF015A0B
	v_mul_f32_dpp v183, v11, v183 row_newbcast:11 row_mask:0xf bank_mask:0xf// 0000000080AC: 0B6F6EFA FF015B0B
	v_mul_f32_e32 v180, v18, v180                              // 0000000080B4: 0B696912
	v_mul_f32_e32 v181, v18, v181                              // 0000000080B8: 0B6B6B12
	v_mul_f32_e32 v182, v18, v182                              // 0000000080BC: 0B6D6D12
	v_mul_f32_e32 v183, v18, v183                              // 0000000080C0: 0B6F6F12
	v_mul_f32_e32 v184, v22, v184                              // 0000000080C4: 0B717116
	v_mul_f32_e32 v185, v22, v185                              // 0000000080C8: 0B737316
	v_mul_f32_e32 v186, v22, v186                              // 0000000080CC: 0B757516
	v_mul_f32_e32 v187, v22, v187                              // 0000000080D0: 0B777716
	v_mul_f32_dpp v184, v11, v184 row_newbcast:12 row_mask:0xf bank_mask:0xf// 0000000080D4: 0B7170FA FF015C0B
	v_mul_f32_dpp v185, v11, v185 row_newbcast:13 row_mask:0xf bank_mask:0xf// 0000000080DC: 0B7372FA FF015D0B
	v_mul_f32_dpp v186, v11, v186 row_newbcast:14 row_mask:0xf bank_mask:0xf// 0000000080E4: 0B7574FA FF015E0B
	v_mul_f32_dpp v187, v11, v187 row_newbcast:15 row_mask:0xf bank_mask:0xf// 0000000080EC: 0B7776FA FF015F0B
	v_mul_f32_e32 v184, v17, v184                              // 0000000080F4: 0B717111
	v_mul_f32_e32 v185, v17, v185                              // 0000000080F8: 0B737311
	v_mul_f32_e32 v186, v17, v186                              // 0000000080FC: 0B757511
	v_mul_f32_e32 v187, v17, v187                              // 000000008100: 0B777711
	v_mul_f32_e32 v188, v23, v188                              // 000000008104: 0B797917
	v_mul_f32_e32 v189, v23, v189                              // 000000008108: 0B7B7B17
	v_mul_f32_e32 v190, v23, v190                              // 00000000810C: 0B7D7D17
	v_mul_f32_e32 v191, v23, v191                              // 000000008110: 0B7F7F17
	v_mul_f32_dpp v188, v11, v188 row_newbcast:12 row_mask:0xf bank_mask:0xf// 000000008114: 0B7978FA FF015C0B
	v_mul_f32_dpp v189, v11, v189 row_newbcast:13 row_mask:0xf bank_mask:0xf// 00000000811C: 0B7B7AFA FF015D0B
	v_mul_f32_dpp v190, v11, v190 row_newbcast:14 row_mask:0xf bank_mask:0xf// 000000008124: 0B7D7CFA FF015E0B
	v_mul_f32_dpp v191, v11, v191 row_newbcast:15 row_mask:0xf bank_mask:0xf// 00000000812C: 0B7F7EFA FF015F0B
	v_mul_f32_e32 v188, v18, v188                              // 000000008134: 0B797912
	v_mul_f32_e32 v189, v18, v189                              // 000000008138: 0B7B7B12
	v_mul_f32_e32 v190, v18, v190                              // 00000000813C: 0B7D7D12
	v_mul_f32_e32 v191, v18, v191                              // 000000008140: 0B7F7F12
	v_cvt_pkrtz_f16_f32 v160, v160, v161                       // 000000008144: D29600A0 000343A0
	v_cvt_pkrtz_f16_f32 v161, v162, v163                       // 00000000814C: D29600A1 000347A2
	v_cvt_pkrtz_f16_f32 v162, v164, v165                       // 000000008154: D29600A2 00034BA4
	v_cvt_pkrtz_f16_f32 v163, v166, v167                       // 00000000815C: D29600A3 00034FA6
	v_cvt_pkrtz_f16_f32 v164, v168, v169                       // 000000008164: D29600A4 000353A8
	v_cvt_pkrtz_f16_f32 v165, v170, v171                       // 00000000816C: D29600A5 000357AA
	v_cvt_pkrtz_f16_f32 v166, v172, v173                       // 000000008174: D29600A6 00035BAC
	v_cvt_pkrtz_f16_f32 v167, v174, v175                       // 00000000817C: D29600A7 00035FAE
	v_cvt_pkrtz_f16_f32 v168, v176, v177                       // 000000008184: D29600A8 000363B0
	v_cvt_pkrtz_f16_f32 v169, v178, v179                       // 00000000818C: D29600A9 000367B2
	v_cvt_pkrtz_f16_f32 v170, v180, v181                       // 000000008194: D29600AA 00036BB4
	v_cvt_pkrtz_f16_f32 v171, v182, v183                       // 00000000819C: D29600AB 00036FB6
	v_cvt_pkrtz_f16_f32 v172, v184, v185                       // 0000000081A4: D29600AC 000373B8
	v_cvt_pkrtz_f16_f32 v173, v186, v187                       // 0000000081AC: D29600AD 000377BA
	v_cvt_pkrtz_f16_f32 v174, v188, v189                       // 0000000081B4: D29600AE 00037BBC
	v_cvt_pkrtz_f16_f32 v175, v190, v191                       // 0000000081BC: D29600AF 00037FBE
	ds_write_b64 v3, v[160:161] offset:26880                   // 0000000081C4: D89A6900 0000A003
	ds_write_b64 v3, v[162:163] offset:35584                   // 0000000081CC: D89A8B00 0000A203
	ds_write_b64 v3, v[164:165] offset:29056                   // 0000000081D4: D89A7180 0000A403
	ds_write_b64 v3, v[166:167] offset:37760                   // 0000000081DC: D89A9380 0000A603
	ds_write_b64 v3, v[168:169] offset:31232                   // 0000000081E4: D89A7A00 0000A803
	ds_write_b64 v3, v[170:171] offset:39936                   // 0000000081EC: D89A9C00 0000AA03
	ds_write_b64 v3, v[172:173] offset:33408                   // 0000000081F4: D89A8280 0000AC03
	ds_write_b64 v3, v[174:175] offset:42112                   // 0000000081FC: D89AA480 0000AE03
	s_waitcnt lgkmcnt(0)                                       // 000000008204: BF8CC07F
	s_barrier                                                  // 000000008208: BF8A0000
	ds_read_b32 v64, v4 offset:26880                           // 00000000820C: D86C6900 40000004
	ds_read_b32 v65, v4 offset:31232                           // 000000008214: D86C7A00 41000004
	ds_read_b32 v66, v4 offset:26912                           // 00000000821C: D86C6920 42000004
	ds_read_b32 v67, v4 offset:31264                           // 000000008224: D86C7A20 43000004
	ds_read_b32 v68, v4 offset:26944                           // 00000000822C: D86C6940 44000004
	ds_read_b32 v69, v4 offset:31296                           // 000000008234: D86C7A40 45000004
	ds_read_b32 v70, v4 offset:26976                           // 00000000823C: D86C6960 46000004
	ds_read_b32 v71, v4 offset:31328                           // 000000008244: D86C7A60 47000004
	ds_read_b32 v72, v4 offset:35584                           // 00000000824C: D86C8B00 48000004
	ds_read_b32 v73, v4 offset:39936                           // 000000008254: D86C9C00 49000004
	ds_read_b32 v74, v4 offset:35616                           // 00000000825C: D86C8B20 4A000004
	ds_read_b32 v75, v4 offset:39968                           // 000000008264: D86C9C20 4B000004
	ds_read_b32 v76, v4 offset:35648                           // 00000000826C: D86C8B40 4C000004
	ds_read_b32 v77, v4 offset:40000                           // 000000008274: D86C9C40 4D000004
	ds_read_b32 v78, v4 offset:35680                           // 00000000827C: D86C8B60 4E000004
	ds_read_b32 v79, v4 offset:40032                           // 000000008284: D86C9C60 4F000004
	s_waitcnt lgkmcnt(0)                                       // 00000000828C: BF8CC07F
	s_mov_b64 exec, s[20:21]                                   // 000000008290: BEFE0114
	global_atomic_pk_add_f16 v80, v64, s[8:9]                  // 000000008294: DD388000 00084050
	s_mov_b64 exec, s[36:37]                                   // 00000000829C: BEFE0124
	s_mov_b64 exec, s[20:21]                                   // 0000000082A0: BEFE0114
	global_atomic_pk_add_f16 v80, v65, s[8:9] offset:256       // 0000000082A4: DD388100 00084150
	s_mov_b64 exec, s[36:37]                                   // 0000000082AC: BEFE0124
	s_mov_b64 exec, s[22:23]                                   // 0000000082B0: BEFE0116
	global_atomic_pk_add_f16 v82, v66, s[8:9]                  // 0000000082B4: DD388000 00084252
	s_mov_b64 exec, s[36:37]                                   // 0000000082BC: BEFE0124
	s_mov_b64 exec, s[22:23]                                   // 0000000082C0: BEFE0116
	global_atomic_pk_add_f16 v82, v67, s[8:9] offset:256       // 0000000082C4: DD388100 00084352
	s_mov_b64 exec, s[36:37]                                   // 0000000082CC: BEFE0124
	s_mov_b64 exec, s[24:25]                                   // 0000000082D0: BEFE0118
	global_atomic_pk_add_f16 v84, v68, s[8:9]                  // 0000000082D4: DD388000 00084454
	s_mov_b64 exec, s[36:37]                                   // 0000000082DC: BEFE0124
	s_mov_b64 exec, s[24:25]                                   // 0000000082E0: BEFE0118
	global_atomic_pk_add_f16 v84, v69, s[8:9] offset:256       // 0000000082E4: DD388100 00084554
	s_mov_b64 exec, s[36:37]                                   // 0000000082EC: BEFE0124
	s_mov_b64 exec, s[26:27]                                   // 0000000082F0: BEFE011A
	global_atomic_pk_add_f16 v86, v70, s[8:9]                  // 0000000082F4: DD388000 00084656
	s_mov_b64 exec, s[36:37]                                   // 0000000082FC: BEFE0124
	s_mov_b64 exec, s[26:27]                                   // 000000008300: BEFE011A
	global_atomic_pk_add_f16 v86, v71, s[8:9] offset:256       // 000000008304: DD388100 00084756
	s_mov_b64 exec, s[36:37]                                   // 00000000830C: BEFE0124
	s_mov_b64 exec, s[28:29]                                   // 000000008310: BEFE011C
	global_atomic_pk_add_f16 v88, v72, s[8:9]                  // 000000008314: DD388000 00084858
	s_mov_b64 exec, s[36:37]                                   // 00000000831C: BEFE0124
	s_mov_b64 exec, s[28:29]                                   // 000000008320: BEFE011C
	global_atomic_pk_add_f16 v88, v73, s[8:9] offset:256       // 000000008324: DD388100 00084958
	s_mov_b64 exec, s[36:37]                                   // 00000000832C: BEFE0124
	s_mov_b64 exec, s[30:31]                                   // 000000008330: BEFE011E
	global_atomic_pk_add_f16 v90, v74, s[8:9]                  // 000000008334: DD388000 00084A5A
	s_mov_b64 exec, s[36:37]                                   // 00000000833C: BEFE0124
	s_mov_b64 exec, s[30:31]                                   // 000000008340: BEFE011E
	global_atomic_pk_add_f16 v90, v75, s[8:9] offset:256       // 000000008344: DD388100 00084B5A
	s_mov_b64 exec, s[36:37]                                   // 00000000834C: BEFE0124
	s_mov_b64 exec, s[32:33]                                   // 000000008350: BEFE0120
	global_atomic_pk_add_f16 v92, v76, s[8:9]                  // 000000008354: DD388000 00084C5C
	s_mov_b64 exec, s[36:37]                                   // 00000000835C: BEFE0124
	s_mov_b64 exec, s[32:33]                                   // 000000008360: BEFE0120
	global_atomic_pk_add_f16 v92, v77, s[8:9] offset:256       // 000000008364: DD388100 00084D5C
	s_mov_b64 exec, s[36:37]                                   // 00000000836C: BEFE0124
	s_mov_b64 exec, s[34:35]                                   // 000000008370: BEFE0122
	global_atomic_pk_add_f16 v94, v78, s[8:9]                  // 000000008374: DD388000 00084E5E
	s_mov_b64 exec, s[36:37]                                   // 00000000837C: BEFE0124
	s_mov_b64 exec, s[34:35]                                   // 000000008380: BEFE0122
	global_atomic_pk_add_f16 v94, v79, s[8:9] offset:256       // 000000008384: DD388100 00084F5E
	s_mov_b64 exec, s[36:37]                                   // 00000000838C: BEFE0124
	s_add_u32 s8, s59, s8                                      // 000000008390: 8008083B
	s_addc_u32 s9, 0, s9                                       // 000000008394: 82090980
	s_addk_i32 s80, 0x100                                      // 000000008398: B7500100
	s_cmp_lt_i32 s80, s81                                      // 00000000839C: BF045150
	s_cbranch_scc0 label_0CE4                                  // 0000000083A0: BF84F77B
	s_waitcnt vmcnt(29)                                        // 0000000083A4: BF8C4F7D
	s_barrier                                                  // 0000000083A8: BF8A0000
	v_mfma_f32_16x16x32_fp8_fp8 v[192:195], a[64:65], v[128:129], 0// 0000000083AC: D3F300C0 0A030140
	buffer_load_dwordx4 a[0:3], v36, s[12:15], 0 offen         // 0000000083B4: E05C1000 80830024
	v_mfma_f32_16x16x32_fp8_fp8 v[192:195], a[66:67], v[130:131], v[192:195]// 0000000083BC: D3F300C0 0F030542
	v_mfma_f32_16x16x32_fp8_fp8 v[196:199], a[64:65], v[144:145], 0// 0000000083C4: D3F300C4 0A032140
	v_mfma_f32_16x16x32_fp8_fp8 v[196:199], a[66:67], v[146:147], v[196:199]// 0000000083CC: D3F300C4 0F132542
	v_mfma_f32_16x16x32_fp8_fp8 v[200:203], a[68:69], v[128:129], 0// 0000000083D4: D3F300C8 0A030144
	buffer_load_dwordx4 a[4:7], v37, s[12:15], 0 offen         // 0000000083DC: E05C1000 80830425
	v_mfma_f32_16x16x32_fp8_fp8 v[200:203], a[70:71], v[130:131], v[200:203]// 0000000083E4: D3F300C8 0F230546
	v_mfma_f32_16x16x32_fp8_fp8 v[204:207], a[68:69], v[144:145], 0// 0000000083EC: D3F300CC 0A032144
	v_mfma_f32_16x16x32_fp8_fp8 v[204:207], a[70:71], v[146:147], v[204:207]// 0000000083F4: D3F300CC 0F332546
	v_mfma_f32_16x16x32_fp8_fp8 v[208:211], a[72:73], v[128:129], 0// 0000000083FC: D3F300D0 0A030148
	buffer_load_dwordx4 a[8:11], v38, s[12:15], 0 offen        // 000000008404: E05C1000 80830826
	v_mfma_f32_16x16x32_fp8_fp8 v[208:211], a[74:75], v[130:131], v[208:211]// 00000000840C: D3F300D0 0F43054A
	v_mfma_f32_16x16x32_fp8_fp8 v[212:215], a[72:73], v[144:145], 0// 000000008414: D3F300D4 0A032148
	v_mfma_f32_16x16x32_fp8_fp8 v[212:215], a[74:75], v[146:147], v[212:215]// 00000000841C: D3F300D4 0F53254A
	v_mfma_f32_16x16x32_fp8_fp8 v[216:219], a[76:77], v[128:129], 0// 000000008424: D3F300D8 0A03014C
	buffer_load_dwordx4 a[12:15], v39, s[12:15], 0 offen       // 00000000842C: E05C1000 80830C27
	s_add_u32 s12, s78, s12                                    // 000000008434: 800C0C4E
	s_addc_u32 s13, 0, s13                                     // 000000008438: 820D0D80
	v_mfma_f32_16x16x32_fp8_fp8 v[216:219], a[78:79], v[130:131], v[216:219]// 00000000843C: D3F300D8 0F63054E
	v_mfma_f32_16x16x32_fp8_fp8 v[220:223], a[76:77], v[144:145], 0// 000000008444: D3F300DC 0A03214C
	v_mfma_f32_16x16x32_fp8_fp8 v[220:223], a[78:79], v[146:147], v[220:223]// 00000000844C: D3F300DC 0F73254E
	s_waitcnt vmcnt(29)                                        // 000000008454: BF8C4F7D
	v_mfma_f32_16x16x32_fp8_fp8 v[192:195], a[80:81], v[132:133], v[192:195]// 000000008458: D3F300C0 0F030950
	buffer_load_dwordx4 a[16:19], v36, s[12:15], 0 offen       // 000000008460: E05C1000 80831024
	v_mfma_f32_16x16x32_fp8_fp8 v[192:195], a[82:83], v[134:135], v[192:195]// 000000008468: D3F300C0 0F030D52
	v_mfma_f32_16x16x32_fp8_fp8 v[196:199], a[80:81], v[148:149], v[196:199]// 000000008470: D3F300C4 0F132950
	v_mfma_f32_16x16x32_fp8_fp8 v[196:199], a[82:83], v[150:151], v[196:199]// 000000008478: D3F300C4 0F132D52
	v_mfma_f32_16x16x32_fp8_fp8 v[200:203], a[84:85], v[132:133], v[200:203]// 000000008480: D3F300C8 0F230954
	buffer_load_dwordx4 a[20:23], v37, s[12:15], 0 offen       // 000000008488: E05C1000 80831425
	v_mfma_f32_16x16x32_fp8_fp8 v[200:203], a[86:87], v[134:135], v[200:203]// 000000008490: D3F300C8 0F230D56
	v_mfma_f32_16x16x32_fp8_fp8 v[204:207], a[84:85], v[148:149], v[204:207]// 000000008498: D3F300CC 0F332954
	v_mfma_f32_16x16x32_fp8_fp8 v[204:207], a[86:87], v[150:151], v[204:207]// 0000000084A0: D3F300CC 0F332D56
	v_mfma_f32_16x16x32_fp8_fp8 v[208:211], a[88:89], v[132:133], v[208:211]// 0000000084A8: D3F300D0 0F430958
	buffer_load_dwordx4 a[24:27], v38, s[12:15], 0 offen       // 0000000084B0: E05C1000 80831826
	v_mfma_f32_16x16x32_fp8_fp8 v[208:211], a[90:91], v[134:135], v[208:211]// 0000000084B8: D3F300D0 0F430D5A
	v_mfma_f32_16x16x32_fp8_fp8 v[212:215], a[88:89], v[148:149], v[212:215]// 0000000084C0: D3F300D4 0F532958
	v_mfma_f32_16x16x32_fp8_fp8 v[212:215], a[90:91], v[150:151], v[212:215]// 0000000084C8: D3F300D4 0F532D5A
	v_mfma_f32_16x16x32_fp8_fp8 v[216:219], a[92:93], v[132:133], v[216:219]// 0000000084D0: D3F300D8 0F63095C
	buffer_load_dwordx4 a[28:31], v39, s[12:15], 0 offen       // 0000000084D8: E05C1000 80831C27
	s_add_u32 s12, s78, s12                                    // 0000000084E0: 800C0C4E
	s_addc_u32 s13, 0, s13                                     // 0000000084E4: 820D0D80
	v_mfma_f32_16x16x32_fp8_fp8 v[216:219], a[94:95], v[134:135], v[216:219]// 0000000084E8: D3F300D8 0F630D5E
	v_mfma_f32_16x16x32_fp8_fp8 v[220:223], a[92:93], v[148:149], v[220:223]// 0000000084F0: D3F300DC 0F73295C
	v_mfma_f32_16x16x32_fp8_fp8 v[220:223], a[94:95], v[150:151], v[220:223]// 0000000084F8: D3F300DC 0F732D5E
	s_waitcnt vmcnt(29)                                        // 000000008500: BF8C4F7D
	v_mfma_f32_16x16x32_fp8_fp8 v[192:195], a[96:97], v[136:137], v[192:195]// 000000008504: D3F300C0 0F031160
	buffer_load_dwordx4 a[32:35], v36, s[12:15], 0 offen       // 00000000850C: E05C1000 80832024
	v_mfma_f32_16x16x32_fp8_fp8 v[192:195], a[98:99], v[138:139], v[192:195]// 000000008514: D3F300C0 0F031562
	v_mfma_f32_16x16x32_fp8_fp8 v[196:199], a[96:97], v[152:153], v[196:199]// 00000000851C: D3F300C4 0F133160
	v_mfma_f32_16x16x32_fp8_fp8 v[196:199], a[98:99], v[154:155], v[196:199]// 000000008524: D3F300C4 0F133562
	v_mfma_f32_16x16x32_fp8_fp8 v[200:203], a[100:101], v[136:137], v[200:203]// 00000000852C: D3F300C8 0F231164
	buffer_load_dwordx4 a[36:39], v37, s[12:15], 0 offen       // 000000008534: E05C1000 80832425
	v_mfma_f32_16x16x32_fp8_fp8 v[200:203], a[102:103], v[138:139], v[200:203]// 00000000853C: D3F300C8 0F231566
	v_mfma_f32_16x16x32_fp8_fp8 v[204:207], a[100:101], v[152:153], v[204:207]// 000000008544: D3F300CC 0F333164
	v_mfma_f32_16x16x32_fp8_fp8 v[204:207], a[102:103], v[154:155], v[204:207]// 00000000854C: D3F300CC 0F333566
	v_mfma_f32_16x16x32_fp8_fp8 v[208:211], a[104:105], v[136:137], v[208:211]// 000000008554: D3F300D0 0F431168
	buffer_load_dwordx4 a[40:43], v38, s[12:15], 0 offen       // 00000000855C: E05C1000 80832826
	v_mfma_f32_16x16x32_fp8_fp8 v[208:211], a[106:107], v[138:139], v[208:211]// 000000008564: D3F300D0 0F43156A
	v_mfma_f32_16x16x32_fp8_fp8 v[212:215], a[104:105], v[152:153], v[212:215]// 00000000856C: D3F300D4 0F533168
	v_mfma_f32_16x16x32_fp8_fp8 v[212:215], a[106:107], v[154:155], v[212:215]// 000000008574: D3F300D4 0F53356A
	v_mfma_f32_16x16x32_fp8_fp8 v[216:219], a[108:109], v[136:137], v[216:219]// 00000000857C: D3F300D8 0F63116C
	buffer_load_dwordx4 a[44:47], v39, s[12:15], 0 offen       // 000000008584: E05C1000 80832C27
	s_add_u32 s12, s78, s12                                    // 00000000858C: 800C0C4E
	s_addc_u32 s13, 0, s13                                     // 000000008590: 820D0D80
	v_mfma_f32_16x16x32_fp8_fp8 v[216:219], a[110:111], v[138:139], v[216:219]// 000000008594: D3F300D8 0F63156E
	v_mfma_f32_16x16x32_fp8_fp8 v[220:223], a[108:109], v[152:153], v[220:223]// 00000000859C: D3F300DC 0F73316C
	v_mfma_f32_16x16x32_fp8_fp8 v[220:223], a[110:111], v[154:155], v[220:223]// 0000000085A4: D3F300DC 0F73356E
	s_waitcnt vmcnt(28)                                        // 0000000085AC: BF8C4F7C
	v_mfma_f32_16x16x32_fp8_fp8 v[192:195], a[112:113], v[140:141], v[192:195]// 0000000085B0: D3F300C0 0F031970
	buffer_load_dwordx4 a[48:51], v36, s[12:15], 0 offen       // 0000000085B8: E05C1000 80833024
	v_mfma_f32_16x16x32_fp8_fp8 v[192:195], a[114:115], v[142:143], v[192:195]// 0000000085C0: D3F300C0 0F031D72
	v_mfma_f32_16x16x32_fp8_fp8 v[196:199], a[112:113], v[156:157], v[196:199]// 0000000085C8: D3F300C4 0F133970
	buffer_load_dword v11, v5, s[16:19], 0 offen               // 0000000085D0: E0501000 80040B05
	v_mfma_f32_16x16x32_fp8_fp8 v[196:199], a[114:115], v[158:159], v[196:199]// 0000000085D8: D3F300C4 0F133D72
	v_mfma_f32_16x16x32_fp8_fp8 v[200:203], a[116:117], v[140:141], v[200:203]// 0000000085E0: D3F300C8 0F231974
	buffer_load_dwordx4 a[52:55], v37, s[12:15], 0 offen       // 0000000085E8: E05C1000 80833425
	v_mfma_f32_16x16x32_fp8_fp8 v[200:203], a[118:119], v[142:143], v[200:203]// 0000000085F0: D3F300C8 0F231D76
	v_mfma_f32_16x16x32_fp8_fp8 v[204:207], a[116:117], v[156:157], v[204:207]// 0000000085F8: D3F300CC 0F333974
	v_mfma_f32_16x16x32_fp8_fp8 v[204:207], a[118:119], v[158:159], v[204:207]// 000000008600: D3F300CC 0F333D76
	v_mfma_f32_16x16x32_fp8_fp8 v[208:211], a[120:121], v[140:141], v[208:211]// 000000008608: D3F300D0 0F431978
	buffer_load_dwordx4 a[56:59], v38, s[12:15], 0 offen       // 000000008610: E05C1000 80833826
	v_mfma_f32_16x16x32_fp8_fp8 v[208:211], a[122:123], v[142:143], v[208:211]// 000000008618: D3F300D0 0F431D7A
	v_mfma_f32_16x16x32_fp8_fp8 v[212:215], a[120:121], v[156:157], v[212:215]// 000000008620: D3F300D4 0F533978
	v_mfma_f32_16x16x32_fp8_fp8 v[212:215], a[122:123], v[158:159], v[212:215]// 000000008628: D3F300D4 0F533D7A
	v_mfma_f32_16x16x32_fp8_fp8 v[216:219], a[124:125], v[140:141], v[216:219]// 000000008630: D3F300D8 0F63197C
	buffer_load_dwordx4 a[60:63], v39, s[12:15], 0 offen       // 000000008638: E05C1000 80833C27
	v_mfma_f32_16x16x32_fp8_fp8 v[216:219], a[126:127], v[142:143], v[216:219]// 000000008640: D3F300D8 0F631D7E
	v_mfma_f32_16x16x32_fp8_fp8 v[220:223], a[124:125], v[156:157], v[220:223]// 000000008648: D3F300DC 0F73397C
	v_mfma_f32_16x16x32_fp8_fp8 v[220:223], a[126:127], v[158:159], v[220:223]// 000000008650: D3F300DC 0F733D7E
	s_add_u32 s60, 0x200, s80                                  // 000000008658: 803C50FF 00000200
	s_cmp_lt_u32 s60, s81                                      // 000000008660: BF0A513C
	s_cselect_b32 s56, s56, 0                                  // 000000008664: 85388038
	s_cselect_b32 s78, s78, 0                                  // 000000008668: 854E804E
	s_cselect_b32 s79, s79, 0                                  // 00000000866C: 854F804F
	s_add_u32 s12, s56, s12                                    // 000000008670: 800C0C38
	s_addc_u32 s13, 0, s13                                     // 000000008674: 820D0D80
	s_add_u32 s16, s79, s16                                    // 000000008678: 8010104F
	s_addc_u32 s17, 0, s17                                     // 00000000867C: 82111180
	v_mul_f32_e32 v192, v22, v192                              // 000000008680: 0B818116
	v_mul_f32_e32 v193, v22, v193                              // 000000008684: 0B838316
	v_mul_f32_e32 v194, v22, v194                              // 000000008688: 0B858516
	v_mul_f32_e32 v195, v22, v195                              // 00000000868C: 0B878716
	v_mul_f32_dpp v192, v12, v192 row_newbcast:0 row_mask:0xf bank_mask:0xf// 000000008690: 0B8180FA FF01500C
	v_mul_f32_dpp v193, v12, v193 row_newbcast:1 row_mask:0xf bank_mask:0xf// 000000008698: 0B8382FA FF01510C
	v_mul_f32_dpp v194, v12, v194 row_newbcast:2 row_mask:0xf bank_mask:0xf// 0000000086A0: 0B8584FA FF01520C
	v_mul_f32_dpp v195, v12, v195 row_newbcast:3 row_mask:0xf bank_mask:0xf// 0000000086A8: 0B8786FA FF01530C
	v_mul_f32_e32 v192, v17, v192                              // 0000000086B0: 0B818111
	v_mul_f32_e32 v193, v17, v193                              // 0000000086B4: 0B838311
	v_mul_f32_e32 v194, v17, v194                              // 0000000086B8: 0B858511
	v_mul_f32_e32 v195, v17, v195                              // 0000000086BC: 0B878711
	v_mul_f32_e32 v196, v23, v196                              // 0000000086C0: 0B898917
	v_mul_f32_e32 v197, v23, v197                              // 0000000086C4: 0B8B8B17
	v_mul_f32_e32 v198, v23, v198                              // 0000000086C8: 0B8D8D17
	v_mul_f32_e32 v199, v23, v199                              // 0000000086CC: 0B8F8F17
	v_mul_f32_dpp v196, v12, v196 row_newbcast:0 row_mask:0xf bank_mask:0xf// 0000000086D0: 0B8988FA FF01500C
	v_mul_f32_dpp v197, v12, v197 row_newbcast:1 row_mask:0xf bank_mask:0xf// 0000000086D8: 0B8B8AFA FF01510C
	v_mul_f32_dpp v198, v12, v198 row_newbcast:2 row_mask:0xf bank_mask:0xf// 0000000086E0: 0B8D8CFA FF01520C
	v_mul_f32_dpp v199, v12, v199 row_newbcast:3 row_mask:0xf bank_mask:0xf// 0000000086E8: 0B8F8EFA FF01530C
	v_mul_f32_e32 v196, v18, v196                              // 0000000086F0: 0B898912
	v_mul_f32_e32 v197, v18, v197                              // 0000000086F4: 0B8B8B12
	v_mul_f32_e32 v198, v18, v198                              // 0000000086F8: 0B8D8D12
	v_mul_f32_e32 v199, v18, v199                              // 0000000086FC: 0B8F8F12
	v_mul_f32_e32 v200, v22, v200                              // 000000008700: 0B919116
	v_mul_f32_e32 v201, v22, v201                              // 000000008704: 0B939316
	v_mul_f32_e32 v202, v22, v202                              // 000000008708: 0B959516
	v_mul_f32_e32 v203, v22, v203                              // 00000000870C: 0B979716
	v_mul_f32_dpp v200, v12, v200 row_newbcast:4 row_mask:0xf bank_mask:0xf// 000000008710: 0B9190FA FF01540C
	v_mul_f32_dpp v201, v12, v201 row_newbcast:5 row_mask:0xf bank_mask:0xf// 000000008718: 0B9392FA FF01550C
	v_mul_f32_dpp v202, v12, v202 row_newbcast:6 row_mask:0xf bank_mask:0xf// 000000008720: 0B9594FA FF01560C
	v_mul_f32_dpp v203, v12, v203 row_newbcast:7 row_mask:0xf bank_mask:0xf// 000000008728: 0B9796FA FF01570C
	v_mul_f32_e32 v200, v17, v200                              // 000000008730: 0B919111
	v_mul_f32_e32 v201, v17, v201                              // 000000008734: 0B939311
	v_mul_f32_e32 v202, v17, v202                              // 000000008738: 0B959511
	v_mul_f32_e32 v203, v17, v203                              // 00000000873C: 0B979711
	v_mul_f32_e32 v204, v23, v204                              // 000000008740: 0B999917
	v_mul_f32_e32 v205, v23, v205                              // 000000008744: 0B9B9B17
	v_mul_f32_e32 v206, v23, v206                              // 000000008748: 0B9D9D17
	v_mul_f32_e32 v207, v23, v207                              // 00000000874C: 0B9F9F17
	v_mul_f32_dpp v204, v12, v204 row_newbcast:4 row_mask:0xf bank_mask:0xf// 000000008750: 0B9998FA FF01540C
	v_mul_f32_dpp v205, v12, v205 row_newbcast:5 row_mask:0xf bank_mask:0xf// 000000008758: 0B9B9AFA FF01550C
	v_mul_f32_dpp v206, v12, v206 row_newbcast:6 row_mask:0xf bank_mask:0xf// 000000008760: 0B9D9CFA FF01560C
	v_mul_f32_dpp v207, v12, v207 row_newbcast:7 row_mask:0xf bank_mask:0xf// 000000008768: 0B9F9EFA FF01570C
	v_mul_f32_e32 v204, v18, v204                              // 000000008770: 0B999912
	v_mul_f32_e32 v205, v18, v205                              // 000000008774: 0B9B9B12
	v_mul_f32_e32 v206, v18, v206                              // 000000008778: 0B9D9D12
	v_mul_f32_e32 v207, v18, v207                              // 00000000877C: 0B9F9F12
	v_mul_f32_e32 v208, v22, v208                              // 000000008780: 0BA1A116
	v_mul_f32_e32 v209, v22, v209                              // 000000008784: 0BA3A316
	v_mul_f32_e32 v210, v22, v210                              // 000000008788: 0BA5A516
	v_mul_f32_e32 v211, v22, v211                              // 00000000878C: 0BA7A716
	v_mul_f32_dpp v208, v12, v208 row_newbcast:8 row_mask:0xf bank_mask:0xf// 000000008790: 0BA1A0FA FF01580C
	v_mul_f32_dpp v209, v12, v209 row_newbcast:9 row_mask:0xf bank_mask:0xf// 000000008798: 0BA3A2FA FF01590C
	v_mul_f32_dpp v210, v12, v210 row_newbcast:10 row_mask:0xf bank_mask:0xf// 0000000087A0: 0BA5A4FA FF015A0C
	v_mul_f32_dpp v211, v12, v211 row_newbcast:11 row_mask:0xf bank_mask:0xf// 0000000087A8: 0BA7A6FA FF015B0C
	v_mul_f32_e32 v208, v17, v208                              // 0000000087B0: 0BA1A111
	v_mul_f32_e32 v209, v17, v209                              // 0000000087B4: 0BA3A311
	v_mul_f32_e32 v210, v17, v210                              // 0000000087B8: 0BA5A511
	v_mul_f32_e32 v211, v17, v211                              // 0000000087BC: 0BA7A711
	v_mul_f32_e32 v212, v23, v212                              // 0000000087C0: 0BA9A917
	v_mul_f32_e32 v213, v23, v213                              // 0000000087C4: 0BABAB17
	v_mul_f32_e32 v214, v23, v214                              // 0000000087C8: 0BADAD17
	v_mul_f32_e32 v215, v23, v215                              // 0000000087CC: 0BAFAF17
	v_mul_f32_dpp v212, v12, v212 row_newbcast:8 row_mask:0xf bank_mask:0xf// 0000000087D0: 0BA9A8FA FF01580C
	v_mul_f32_dpp v213, v12, v213 row_newbcast:9 row_mask:0xf bank_mask:0xf// 0000000087D8: 0BABAAFA FF01590C
	v_mul_f32_dpp v214, v12, v214 row_newbcast:10 row_mask:0xf bank_mask:0xf// 0000000087E0: 0BADACFA FF015A0C
	v_mul_f32_dpp v215, v12, v215 row_newbcast:11 row_mask:0xf bank_mask:0xf// 0000000087E8: 0BAFAEFA FF015B0C
	v_mul_f32_e32 v212, v18, v212                              // 0000000087F0: 0BA9A912
	v_mul_f32_e32 v213, v18, v213                              // 0000000087F4: 0BABAB12
	v_mul_f32_e32 v214, v18, v214                              // 0000000087F8: 0BADAD12
	v_mul_f32_e32 v215, v18, v215                              // 0000000087FC: 0BAFAF12
	v_mul_f32_e32 v216, v22, v216                              // 000000008800: 0BB1B116
	v_mul_f32_e32 v217, v22, v217                              // 000000008804: 0BB3B316
	v_mul_f32_e32 v218, v22, v218                              // 000000008808: 0BB5B516
	v_mul_f32_e32 v219, v22, v219                              // 00000000880C: 0BB7B716
	v_mul_f32_dpp v216, v12, v216 row_newbcast:12 row_mask:0xf bank_mask:0xf// 000000008810: 0BB1B0FA FF015C0C
	v_mul_f32_dpp v217, v12, v217 row_newbcast:13 row_mask:0xf bank_mask:0xf// 000000008818: 0BB3B2FA FF015D0C
	v_mul_f32_dpp v218, v12, v218 row_newbcast:14 row_mask:0xf bank_mask:0xf// 000000008820: 0BB5B4FA FF015E0C
	v_mul_f32_dpp v219, v12, v219 row_newbcast:15 row_mask:0xf bank_mask:0xf// 000000008828: 0BB7B6FA FF015F0C
	v_mul_f32_e32 v216, v17, v216                              // 000000008830: 0BB1B111
	v_mul_f32_e32 v217, v17, v217                              // 000000008834: 0BB3B311
	v_mul_f32_e32 v218, v17, v218                              // 000000008838: 0BB5B511
	v_mul_f32_e32 v219, v17, v219                              // 00000000883C: 0BB7B711
	v_mul_f32_e32 v220, v23, v220                              // 000000008840: 0BB9B917
	v_mul_f32_e32 v221, v23, v221                              // 000000008844: 0BBBBB17
	v_mul_f32_e32 v222, v23, v222                              // 000000008848: 0BBDBD17
	v_mul_f32_e32 v223, v23, v223                              // 00000000884C: 0BBFBF17
	v_mul_f32_dpp v220, v12, v220 row_newbcast:12 row_mask:0xf bank_mask:0xf// 000000008850: 0BB9B8FA FF015C0C
	v_mul_f32_dpp v221, v12, v221 row_newbcast:13 row_mask:0xf bank_mask:0xf// 000000008858: 0BBBBAFA FF015D0C
	v_mul_f32_dpp v222, v12, v222 row_newbcast:14 row_mask:0xf bank_mask:0xf// 000000008860: 0BBDBCFA FF015E0C
	v_mul_f32_dpp v223, v12, v223 row_newbcast:15 row_mask:0xf bank_mask:0xf// 000000008868: 0BBFBEFA FF015F0C
	v_mul_f32_e32 v220, v18, v220                              // 000000008870: 0BB9B912
	v_mul_f32_e32 v221, v18, v221                              // 000000008874: 0BBBBB12
	v_mul_f32_e32 v222, v18, v222                              // 000000008878: 0BBDBD12
	v_mul_f32_e32 v223, v18, v223                              // 00000000887C: 0BBFBF12
	v_cvt_pkrtz_f16_f32 v192, v192, v193                       // 000000008880: D29600C0 000383C0
	v_cvt_pkrtz_f16_f32 v193, v194, v195                       // 000000008888: D29600C1 000387C2
	v_cvt_pkrtz_f16_f32 v194, v196, v197                       // 000000008890: D29600C2 00038BC4
	v_cvt_pkrtz_f16_f32 v195, v198, v199                       // 000000008898: D29600C3 00038FC6
	v_cvt_pkrtz_f16_f32 v196, v200, v201                       // 0000000088A0: D29600C4 000393C8
	v_cvt_pkrtz_f16_f32 v197, v202, v203                       // 0000000088A8: D29600C5 000397CA
	v_cvt_pkrtz_f16_f32 v198, v204, v205                       // 0000000088B0: D29600C6 00039BCC
	v_cvt_pkrtz_f16_f32 v199, v206, v207                       // 0000000088B8: D29600C7 00039FCE
	v_cvt_pkrtz_f16_f32 v200, v208, v209                       // 0000000088C0: D29600C8 0003A3D0
	v_cvt_pkrtz_f16_f32 v201, v210, v211                       // 0000000088C8: D29600C9 0003A7D2
	v_cvt_pkrtz_f16_f32 v202, v212, v213                       // 0000000088D0: D29600CA 0003ABD4
	v_cvt_pkrtz_f16_f32 v203, v214, v215                       // 0000000088D8: D29600CB 0003AFD6
	v_cvt_pkrtz_f16_f32 v204, v216, v217                       // 0000000088E0: D29600CC 0003B3D8
	v_cvt_pkrtz_f16_f32 v205, v218, v219                       // 0000000088E8: D29600CD 0003B7DA
	v_cvt_pkrtz_f16_f32 v206, v220, v221                       // 0000000088F0: D29600CE 0003BBDC
	v_cvt_pkrtz_f16_f32 v207, v222, v223                       // 0000000088F8: D29600CF 0003BFDE
	ds_write_b64 v3, v[192:193] offset:26880                   // 000000008900: D89A6900 0000C003
	ds_write_b64 v3, v[194:195] offset:35584                   // 000000008908: D89A8B00 0000C203
	ds_write_b64 v3, v[196:197] offset:29056                   // 000000008910: D89A7180 0000C403
	ds_write_b64 v3, v[198:199] offset:37760                   // 000000008918: D89A9380 0000C603
	ds_write_b64 v3, v[200:201] offset:31232                   // 000000008920: D89A7A00 0000C803
	ds_write_b64 v3, v[202:203] offset:39936                   // 000000008928: D89A9C00 0000CA03
	ds_write_b64 v3, v[204:205] offset:33408                   // 000000008930: D89A8280 0000CC03
	ds_write_b64 v3, v[206:207] offset:42112                   // 000000008938: D89AA480 0000CE03
	s_waitcnt lgkmcnt(0)                                       // 000000008940: BF8CC07F
	s_barrier                                                  // 000000008944: BF8A0000
	ds_read_b32 v64, v4 offset:26880                           // 000000008948: D86C6900 40000004
	ds_read_b32 v65, v4 offset:31232                           // 000000008950: D86C7A00 41000004
	ds_read_b32 v66, v4 offset:26912                           // 000000008958: D86C6920 42000004
	ds_read_b32 v67, v4 offset:31264                           // 000000008960: D86C7A20 43000004
	ds_read_b32 v68, v4 offset:26944                           // 000000008968: D86C6940 44000004
	ds_read_b32 v69, v4 offset:31296                           // 000000008970: D86C7A40 45000004
	ds_read_b32 v70, v4 offset:26976                           // 000000008978: D86C6960 46000004
	ds_read_b32 v71, v4 offset:31328                           // 000000008980: D86C7A60 47000004
	ds_read_b32 v72, v4 offset:35584                           // 000000008988: D86C8B00 48000004
	ds_read_b32 v73, v4 offset:39936                           // 000000008990: D86C9C00 49000004
	ds_read_b32 v74, v4 offset:35616                           // 000000008998: D86C8B20 4A000004
	ds_read_b32 v75, v4 offset:39968                           // 0000000089A0: D86C9C20 4B000004
	ds_read_b32 v76, v4 offset:35648                           // 0000000089A8: D86C8B40 4C000004
	ds_read_b32 v77, v4 offset:40000                           // 0000000089B0: D86C9C40 4D000004
	ds_read_b32 v78, v4 offset:35680                           // 0000000089B8: D86C8B60 4E000004
	ds_read_b32 v79, v4 offset:40032                           // 0000000089C0: D86C9C60 4F000004
	s_waitcnt lgkmcnt(0)                                       // 0000000089C8: BF8CC07F
	s_mov_b64 exec, s[20:21]                                   // 0000000089CC: BEFE0114
	global_atomic_pk_add_f16 v80, v64, s[8:9]                  // 0000000089D0: DD388000 00084050
	s_mov_b64 exec, s[36:37]                                   // 0000000089D8: BEFE0124
	s_mov_b64 exec, s[20:21]                                   // 0000000089DC: BEFE0114
	global_atomic_pk_add_f16 v80, v65, s[8:9] offset:256       // 0000000089E0: DD388100 00084150
	s_mov_b64 exec, s[36:37]                                   // 0000000089E8: BEFE0124
	s_mov_b64 exec, s[22:23]                                   // 0000000089EC: BEFE0116
	global_atomic_pk_add_f16 v82, v66, s[8:9]                  // 0000000089F0: DD388000 00084252
	s_mov_b64 exec, s[36:37]                                   // 0000000089F8: BEFE0124
	s_mov_b64 exec, s[22:23]                                   // 0000000089FC: BEFE0116
	global_atomic_pk_add_f16 v82, v67, s[8:9] offset:256       // 000000008A00: DD388100 00084352
	s_mov_b64 exec, s[36:37]                                   // 000000008A08: BEFE0124
	s_mov_b64 exec, s[24:25]                                   // 000000008A0C: BEFE0118
	global_atomic_pk_add_f16 v84, v68, s[8:9]                  // 000000008A10: DD388000 00084454
	s_mov_b64 exec, s[36:37]                                   // 000000008A18: BEFE0124
	s_mov_b64 exec, s[24:25]                                   // 000000008A1C: BEFE0118
	global_atomic_pk_add_f16 v84, v69, s[8:9] offset:256       // 000000008A20: DD388100 00084554
	s_mov_b64 exec, s[36:37]                                   // 000000008A28: BEFE0124
	s_mov_b64 exec, s[26:27]                                   // 000000008A2C: BEFE011A
	global_atomic_pk_add_f16 v86, v70, s[8:9]                  // 000000008A30: DD388000 00084656
	s_mov_b64 exec, s[36:37]                                   // 000000008A38: BEFE0124
	s_mov_b64 exec, s[26:27]                                   // 000000008A3C: BEFE011A
	global_atomic_pk_add_f16 v86, v71, s[8:9] offset:256       // 000000008A40: DD388100 00084756
	s_mov_b64 exec, s[36:37]                                   // 000000008A48: BEFE0124
	s_mov_b64 exec, s[28:29]                                   // 000000008A4C: BEFE011C
	global_atomic_pk_add_f16 v88, v72, s[8:9]                  // 000000008A50: DD388000 00084858
	s_mov_b64 exec, s[36:37]                                   // 000000008A58: BEFE0124
	s_mov_b64 exec, s[28:29]                                   // 000000008A5C: BEFE011C
	global_atomic_pk_add_f16 v88, v73, s[8:9] offset:256       // 000000008A60: DD388100 00084958
	s_mov_b64 exec, s[36:37]                                   // 000000008A68: BEFE0124
	s_mov_b64 exec, s[30:31]                                   // 000000008A6C: BEFE011E
	global_atomic_pk_add_f16 v90, v74, s[8:9]                  // 000000008A70: DD388000 00084A5A
	s_mov_b64 exec, s[36:37]                                   // 000000008A78: BEFE0124
	s_mov_b64 exec, s[30:31]                                   // 000000008A7C: BEFE011E
	global_atomic_pk_add_f16 v90, v75, s[8:9] offset:256       // 000000008A80: DD388100 00084B5A
	s_mov_b64 exec, s[36:37]                                   // 000000008A88: BEFE0124
	s_mov_b64 exec, s[32:33]                                   // 000000008A8C: BEFE0120
	global_atomic_pk_add_f16 v92, v76, s[8:9]                  // 000000008A90: DD388000 00084C5C
	s_mov_b64 exec, s[36:37]                                   // 000000008A98: BEFE0124
	s_mov_b64 exec, s[32:33]                                   // 000000008A9C: BEFE0120
	global_atomic_pk_add_f16 v92, v77, s[8:9] offset:256       // 000000008AA0: DD388100 00084D5C
	s_mov_b64 exec, s[36:37]                                   // 000000008AA8: BEFE0124
	s_mov_b64 exec, s[34:35]                                   // 000000008AAC: BEFE0122
	global_atomic_pk_add_f16 v94, v78, s[8:9]                  // 000000008AB0: DD388000 00084E5E
	s_mov_b64 exec, s[36:37]                                   // 000000008AB8: BEFE0124
	s_mov_b64 exec, s[34:35]                                   // 000000008ABC: BEFE0122
	global_atomic_pk_add_f16 v94, v79, s[8:9] offset:256       // 000000008AC0: DD388100 00084F5E
	s_mov_b64 exec, s[36:37]                                   // 000000008AC8: BEFE0124
	s_add_u32 s8, s59, s8                                      // 000000008ACC: 8008083B
	s_addc_u32 s9, 0, s9                                       // 000000008AD0: 82090980
	s_addk_i32 s80, 0x100                                      // 000000008AD4: B7500100
	s_cmp_lt_i32 s80, s81                                      // 000000008AD8: BF045150
	s_cbranch_scc0 label_0CE4                                  // 000000008ADC: BF84F5AC
	s_branch label_139A                                        // 000000008AE0: BF82FC61

0000000000008ae4 <label_1739>:
	s_waitcnt vmcnt(0) expcnt(0) lgkmcnt(0)                    // 000000008AE4: BF8C0000
	s_add_u32 s100, s100, 1                                    // 000000008AE8: 80648164
	s_cmp_eq_u32 s96, 0                                        // 000000008AEC: BF068060
	s_cbranch_scc0 label_0039                                  // 000000008AF0: BF84E8FC

0000000000008af4 <label_173D>:
	s_waitcnt vmcnt(0) expcnt(0) lgkmcnt(0)                    // 000000008AF4: BF8C0000
	s_endpgm                                                   // 000000008AF8: BF810000
